;; amdgpu-corpus repo=ROCm/rocFFT kind=compiled arch=gfx1100 opt=O3
	.text
	.amdgcn_target "amdgcn-amd-amdhsa--gfx1100"
	.amdhsa_code_object_version 6
	.protected	fft_rtc_back_len289_factors_17_17_wgs_119_tpt_17_dp_ip_CI_sbcc ; -- Begin function fft_rtc_back_len289_factors_17_17_wgs_119_tpt_17_dp_ip_CI_sbcc
	.globl	fft_rtc_back_len289_factors_17_17_wgs_119_tpt_17_dp_ip_CI_sbcc
	.p2align	8
	.type	fft_rtc_back_len289_factors_17_17_wgs_119_tpt_17_dp_ip_CI_sbcc,@function
fft_rtc_back_len289_factors_17_17_wgs_119_tpt_17_dp_ip_CI_sbcc: ; @fft_rtc_back_len289_factors_17_17_wgs_119_tpt_17_dp_ip_CI_sbcc
; %bb.0:
	s_load_b128 s[8:11], s[0:1], 0x18
	s_mov_b32 s16, s15
	s_mov_b64 s[22:23], 0
	s_waitcnt lgkmcnt(0)
	s_load_b64 s[14:15], s[8:9], 0x8
	s_waitcnt lgkmcnt(0)
	s_add_u32 s2, s14, -1
	s_addc_u32 s3, s15, -1
	s_add_u32 s4, 0, 0x92481000
	s_addc_u32 s5, 0, 0x64
	s_mul_hi_u32 s7, s4, -7
	s_add_i32 s5, s5, 0x249248c0
	s_sub_i32 s7, s7, s4
	s_mul_i32 s13, s5, -7
	s_mul_i32 s6, s4, -7
	s_add_i32 s7, s7, s13
	s_mul_hi_u32 s12, s4, s6
	s_mul_i32 s18, s4, s7
	s_mul_hi_u32 s13, s4, s7
	s_mul_hi_u32 s17, s5, s6
	s_mul_i32 s6, s5, s6
	s_add_u32 s12, s12, s18
	s_addc_u32 s13, 0, s13
	s_mul_hi_u32 s19, s5, s7
	s_add_u32 s6, s12, s6
	s_mul_i32 s7, s5, s7
	s_addc_u32 s6, s13, s17
	s_addc_u32 s12, s19, 0
	s_add_u32 s6, s6, s7
	s_delay_alu instid0(SALU_CYCLE_1) | instskip(SKIP_3) | instid1(VALU_DEP_1)
	v_add_co_u32 v1, s4, s4, s6
	s_addc_u32 s6, 0, s12
	s_cmp_lg_u32 s4, 0
	s_addc_u32 s4, s5, s6
	v_readfirstlane_b32 s5, v1
	s_mul_i32 s7, s2, s4
	s_mul_hi_u32 s6, s2, s4
	s_mul_hi_u32 s12, s3, s4
	s_mul_i32 s4, s3, s4
	s_mul_hi_u32 s13, s2, s5
	s_mul_hi_u32 s17, s3, s5
	s_mul_i32 s5, s3, s5
	s_add_u32 s7, s13, s7
	s_addc_u32 s6, 0, s6
	s_add_u32 s5, s7, s5
	s_addc_u32 s5, s6, s17
	s_addc_u32 s6, s12, 0
	s_add_u32 s4, s5, s4
	s_addc_u32 s5, 0, s6
	s_mul_i32 s7, s4, 7
	s_add_u32 s6, s4, 1
	v_sub_co_u32 v1, s2, s2, s7
	s_mul_hi_u32 s7, s4, 7
	s_addc_u32 s12, s5, 0
	s_mul_i32 s13, s5, 7
	s_delay_alu instid0(VALU_DEP_1)
	v_sub_co_u32 v2, s17, v1, 7
	s_add_u32 s18, s4, 2
	s_addc_u32 s19, s5, 0
	s_add_i32 s7, s7, s13
	s_cmp_lg_u32 s2, 0
	v_readfirstlane_b32 s2, v2
	s_subb_u32 s3, s3, s7
	s_cmp_lg_u32 s17, 0
	s_mov_b32 s17, 0
	s_subb_u32 s7, s3, 0
	s_cmp_gt_u32 s2, 6
	s_cselect_b32 s2, -1, 0
	s_cmp_eq_u32 s7, 0
	v_readfirstlane_b32 s7, v1
	s_cselect_b32 s2, s2, -1
	s_delay_alu instid0(SALU_CYCLE_1)
	s_cmp_lg_u32 s2, 0
	s_cselect_b32 s2, s18, s6
	s_cselect_b32 s6, s19, s12
	s_cmp_gt_u32 s7, 6
	s_cselect_b32 s7, -1, 0
	s_cmp_eq_u32 s3, 0
	s_cselect_b32 s3, s7, -1
	s_delay_alu instid0(SALU_CYCLE_1) | instskip(SKIP_4) | instid1(SALU_CYCLE_1)
	s_cmp_lg_u32 s3, 0
	s_cselect_b32 s2, s2, s4
	s_cselect_b32 s3, s6, s5
	s_add_u32 s18, s2, 1
	s_addc_u32 s19, s3, 0
	v_cmp_lt_u64_e64 s2, s[16:17], s[18:19]
	s_delay_alu instid0(VALU_DEP_1)
	s_and_b32 vcc_lo, exec_lo, s2
	s_cbranch_vccnz .LBB0_2
; %bb.1:
	v_cvt_f32_u32_e32 v1, s18
	s_sub_i32 s3, 0, s18
	s_mov_b32 s23, s17
	s_delay_alu instid0(VALU_DEP_1) | instskip(SKIP_2) | instid1(VALU_DEP_1)
	v_rcp_iflag_f32_e32 v1, v1
	s_waitcnt_depctr 0xfff
	v_mul_f32_e32 v1, 0x4f7ffffe, v1
	v_cvt_u32_f32_e32 v1, v1
	s_delay_alu instid0(VALU_DEP_1) | instskip(NEXT) | instid1(VALU_DEP_1)
	v_readfirstlane_b32 s2, v1
	s_mul_i32 s3, s3, s2
	s_delay_alu instid0(SALU_CYCLE_1) | instskip(NEXT) | instid1(SALU_CYCLE_1)
	s_mul_hi_u32 s3, s2, s3
	s_add_i32 s2, s2, s3
	s_delay_alu instid0(SALU_CYCLE_1) | instskip(NEXT) | instid1(SALU_CYCLE_1)
	s_mul_hi_u32 s2, s16, s2
	s_mul_i32 s3, s2, s18
	s_add_i32 s4, s2, 1
	s_sub_i32 s3, s16, s3
	s_delay_alu instid0(SALU_CYCLE_1)
	s_sub_i32 s5, s3, s18
	s_cmp_ge_u32 s3, s18
	s_cselect_b32 s2, s4, s2
	s_cselect_b32 s3, s5, s3
	s_add_i32 s4, s2, 1
	s_cmp_ge_u32 s3, s18
	s_cselect_b32 s22, s4, s2
.LBB0_2:
	s_load_b128 s[4:7], s[10:11], 0x0
	s_clause 0x2
	s_load_b64 s[20:21], s[0:1], 0x10
	s_load_b64 s[2:3], s[0:1], 0x58
	;; [unrolled: 1-line block ×3, first 2 shown]
	s_mul_i32 s0, s22, s19
	s_mul_hi_u32 s1, s22, s18
	s_mul_i32 s24, s22, s18
	s_add_i32 s1, s1, s0
	s_sub_u32 s35, s16, s24
	s_subb_u32 s0, 0, s1
	s_mul_hi_u32 s34, s35, 7
	s_mul_i32 s0, s0, 7
	s_mul_i32 s35, s35, 7
	s_add_i32 s34, s34, s0
	s_waitcnt lgkmcnt(0)
	s_mul_i32 s0, s6, s34
	v_cmp_lt_u64_e64 s24, s[20:21], 3
	s_mul_hi_u32 s1, s6, s35
	s_mul_i32 s36, s6, s35
	s_add_i32 s0, s1, s0
	s_mul_i32 s1, s7, s35
	s_delay_alu instid0(SALU_CYCLE_1)
	s_add_i32 s33, s0, s1
	s_and_b32 vcc_lo, exec_lo, s24
	s_cbranch_vccnz .LBB0_12
; %bb.3:
	s_add_u32 s0, s10, 16
	s_addc_u32 s1, s11, 0
	s_add_u32 s8, s8, 16
	s_addc_u32 s9, s9, 0
	s_mov_b64 s[24:25], 2
	s_mov_b32 s26, 0
.LBB0_4:                                ; =>This Inner Loop Header: Depth=1
	s_load_b64 s[28:29], s[8:9], 0x0
	s_waitcnt lgkmcnt(0)
	s_or_b64 s[30:31], s[22:23], s[28:29]
	s_delay_alu instid0(SALU_CYCLE_1) | instskip(NEXT) | instid1(SALU_CYCLE_1)
	s_mov_b32 s27, s31
                                        ; implicit-def: $sgpr30_sgpr31
	s_cmp_lg_u64 s[26:27], 0
	s_mov_b32 s27, -1
	s_cbranch_scc0 .LBB0_6
; %bb.5:                                ;   in Loop: Header=BB0_4 Depth=1
	v_cvt_f32_u32_e32 v1, s28
	v_cvt_f32_u32_e32 v2, s29
	s_sub_u32 s31, 0, s28
	s_subb_u32 s37, 0, s29
	s_delay_alu instid0(VALU_DEP_1) | instskip(NEXT) | instid1(VALU_DEP_1)
	v_fmac_f32_e32 v1, 0x4f800000, v2
	v_rcp_f32_e32 v1, v1
	s_waitcnt_depctr 0xfff
	v_mul_f32_e32 v1, 0x5f7ffffc, v1
	s_delay_alu instid0(VALU_DEP_1) | instskip(NEXT) | instid1(VALU_DEP_1)
	v_mul_f32_e32 v2, 0x2f800000, v1
	v_trunc_f32_e32 v2, v2
	s_delay_alu instid0(VALU_DEP_1) | instskip(SKIP_1) | instid1(VALU_DEP_2)
	v_fmac_f32_e32 v1, 0xcf800000, v2
	v_cvt_u32_f32_e32 v2, v2
	v_cvt_u32_f32_e32 v1, v1
	s_delay_alu instid0(VALU_DEP_2) | instskip(NEXT) | instid1(VALU_DEP_2)
	v_readfirstlane_b32 s27, v2
	v_readfirstlane_b32 s30, v1
	s_delay_alu instid0(VALU_DEP_2) | instskip(NEXT) | instid1(VALU_DEP_1)
	s_mul_i32 s38, s31, s27
	s_mul_hi_u32 s40, s31, s30
	s_mul_i32 s39, s37, s30
	s_add_i32 s38, s40, s38
	s_mul_i32 s41, s31, s30
	s_add_i32 s38, s38, s39
	s_mul_hi_u32 s40, s30, s41
	s_mul_hi_u32 s42, s27, s41
	s_mul_i32 s39, s27, s41
	s_mul_hi_u32 s41, s30, s38
	s_mul_i32 s30, s30, s38
	s_mul_hi_u32 s43, s27, s38
	s_add_u32 s30, s40, s30
	s_addc_u32 s40, 0, s41
	s_add_u32 s30, s30, s39
	s_mul_i32 s38, s27, s38
	s_addc_u32 s30, s40, s42
	s_addc_u32 s39, s43, 0
	s_add_u32 s30, s30, s38
	s_addc_u32 s38, 0, s39
	v_add_co_u32 v1, s30, v1, s30
	s_delay_alu instid0(VALU_DEP_1) | instskip(SKIP_1) | instid1(VALU_DEP_1)
	s_cmp_lg_u32 s30, 0
	s_addc_u32 s27, s27, s38
	v_readfirstlane_b32 s30, v1
	s_mul_i32 s38, s31, s27
	s_delay_alu instid0(VALU_DEP_1)
	s_mul_hi_u32 s39, s31, s30
	s_mul_i32 s37, s37, s30
	s_add_i32 s38, s39, s38
	s_mul_i32 s31, s31, s30
	s_add_i32 s38, s38, s37
	s_mul_hi_u32 s39, s27, s31
	s_mul_i32 s40, s27, s31
	s_mul_hi_u32 s31, s30, s31
	s_mul_hi_u32 s41, s30, s38
	s_mul_i32 s30, s30, s38
	s_mul_hi_u32 s37, s27, s38
	s_add_u32 s30, s31, s30
	s_addc_u32 s31, 0, s41
	s_add_u32 s30, s30, s40
	s_mul_i32 s38, s27, s38
	s_addc_u32 s30, s31, s39
	s_addc_u32 s31, s37, 0
	s_add_u32 s30, s30, s38
	s_addc_u32 s31, 0, s31
	v_add_co_u32 v1, s30, v1, s30
	s_delay_alu instid0(VALU_DEP_1) | instskip(SKIP_1) | instid1(VALU_DEP_1)
	s_cmp_lg_u32 s30, 0
	s_addc_u32 s27, s27, s31
	v_readfirstlane_b32 s30, v1
	s_mul_i32 s37, s22, s27
	s_mul_hi_u32 s31, s22, s27
	s_mul_hi_u32 s38, s23, s27
	s_mul_i32 s27, s23, s27
	s_mul_hi_u32 s39, s22, s30
	s_mul_hi_u32 s40, s23, s30
	s_mul_i32 s30, s23, s30
	s_add_u32 s37, s39, s37
	s_addc_u32 s31, 0, s31
	s_add_u32 s30, s37, s30
	s_addc_u32 s30, s31, s40
	s_addc_u32 s31, s38, 0
	s_add_u32 s30, s30, s27
	s_addc_u32 s31, 0, s31
	s_mul_hi_u32 s27, s28, s30
	s_mul_i32 s38, s28, s31
	s_mul_i32 s39, s28, s30
	s_add_i32 s27, s27, s38
	v_sub_co_u32 v1, s38, s22, s39
	s_mul_i32 s37, s29, s30
	s_delay_alu instid0(SALU_CYCLE_1) | instskip(NEXT) | instid1(VALU_DEP_1)
	s_add_i32 s27, s27, s37
	v_sub_co_u32 v2, s39, v1, s28
	s_sub_i32 s37, s23, s27
	s_cmp_lg_u32 s38, 0
	s_subb_u32 s37, s37, s29
	s_cmp_lg_u32 s39, 0
	v_readfirstlane_b32 s39, v2
	s_subb_u32 s37, s37, 0
	s_delay_alu instid0(SALU_CYCLE_1) | instskip(SKIP_1) | instid1(VALU_DEP_1)
	s_cmp_ge_u32 s37, s29
	s_cselect_b32 s40, -1, 0
	s_cmp_ge_u32 s39, s28
	s_cselect_b32 s39, -1, 0
	s_cmp_eq_u32 s37, s29
	s_cselect_b32 s37, s39, s40
	s_add_u32 s39, s30, 1
	s_addc_u32 s40, s31, 0
	s_add_u32 s41, s30, 2
	s_addc_u32 s42, s31, 0
	s_cmp_lg_u32 s37, 0
	s_cselect_b32 s37, s41, s39
	s_cselect_b32 s39, s42, s40
	s_cmp_lg_u32 s38, 0
	v_readfirstlane_b32 s38, v1
	s_subb_u32 s27, s23, s27
	s_delay_alu instid0(SALU_CYCLE_1) | instskip(SKIP_1) | instid1(VALU_DEP_1)
	s_cmp_ge_u32 s27, s29
	s_cselect_b32 s40, -1, 0
	s_cmp_ge_u32 s38, s28
	s_cselect_b32 s38, -1, 0
	s_cmp_eq_u32 s27, s29
	s_cselect_b32 s27, s38, s40
	s_delay_alu instid0(SALU_CYCLE_1)
	s_cmp_lg_u32 s27, 0
	s_mov_b32 s27, 0
	s_cselect_b32 s31, s39, s31
	s_cselect_b32 s30, s37, s30
.LBB0_6:                                ;   in Loop: Header=BB0_4 Depth=1
	s_and_not1_b32 vcc_lo, exec_lo, s27
	s_cbranch_vccnz .LBB0_8
; %bb.7:                                ;   in Loop: Header=BB0_4 Depth=1
	v_cvt_f32_u32_e32 v1, s28
	s_sub_i32 s30, 0, s28
	s_waitcnt_depctr 0xfff
	v_rcp_iflag_f32_e32 v1, v1
	s_waitcnt_depctr 0xfff
	v_mul_f32_e32 v1, 0x4f7ffffe, v1
	s_delay_alu instid0(VALU_DEP_1) | instskip(NEXT) | instid1(VALU_DEP_1)
	v_cvt_u32_f32_e32 v1, v1
	v_readfirstlane_b32 s27, v1
	s_delay_alu instid0(VALU_DEP_1) | instskip(NEXT) | instid1(SALU_CYCLE_1)
	s_mul_i32 s30, s30, s27
	s_mul_hi_u32 s30, s27, s30
	s_delay_alu instid0(SALU_CYCLE_1) | instskip(NEXT) | instid1(SALU_CYCLE_1)
	s_add_i32 s27, s27, s30
	s_mul_hi_u32 s27, s22, s27
	s_delay_alu instid0(SALU_CYCLE_1) | instskip(SKIP_2) | instid1(SALU_CYCLE_1)
	s_mul_i32 s30, s27, s28
	s_add_i32 s31, s27, 1
	s_sub_i32 s30, s22, s30
	s_sub_i32 s37, s30, s28
	s_cmp_ge_u32 s30, s28
	s_cselect_b32 s27, s31, s27
	s_cselect_b32 s30, s37, s30
	s_add_i32 s31, s27, 1
	s_cmp_ge_u32 s30, s28
	s_cselect_b32 s30, s31, s27
	s_mov_b32 s31, s26
.LBB0_8:                                ;   in Loop: Header=BB0_4 Depth=1
	s_load_b64 s[38:39], s[0:1], 0x0
	s_mul_i32 s19, s28, s19
	s_mul_hi_u32 s27, s28, s18
	s_mul_i32 s37, s29, s18
	s_mul_i32 s29, s30, s29
	s_mul_hi_u32 s40, s30, s28
	s_mul_i32 s41, s31, s28
	s_add_i32 s19, s27, s19
	s_add_i32 s27, s40, s29
	s_mul_i32 s42, s30, s28
	s_add_i32 s19, s19, s37
	s_add_i32 s27, s27, s41
	s_sub_u32 s22, s22, s42
	s_subb_u32 s23, s23, s27
	s_mul_i32 s18, s28, s18
	s_waitcnt lgkmcnt(0)
	s_mul_i32 s23, s38, s23
	s_mul_hi_u32 s27, s38, s22
	s_delay_alu instid0(SALU_CYCLE_1)
	s_add_i32 s23, s27, s23
	s_mul_i32 s27, s39, s22
	s_mul_i32 s22, s38, s22
	s_add_i32 s23, s23, s27
	s_add_u32 s36, s22, s36
	s_addc_u32 s33, s23, s33
	s_add_u32 s24, s24, 1
	s_addc_u32 s25, s25, 0
	s_add_u32 s0, s0, 8
	v_cmp_ge_u64_e64 s22, s[24:25], s[20:21]
	s_addc_u32 s1, s1, 0
	s_add_u32 s8, s8, 8
	s_addc_u32 s9, s9, 0
	s_delay_alu instid0(VALU_DEP_1)
	s_and_b32 vcc_lo, exec_lo, s22
	s_cbranch_vccnz .LBB0_10
; %bb.9:                                ;   in Loop: Header=BB0_4 Depth=1
	s_mov_b64 s[22:23], s[30:31]
	s_branch .LBB0_4
.LBB0_10:
	v_cmp_lt_u64_e64 s0, s[16:17], s[18:19]
	s_mov_b64 s[22:23], 0
	s_delay_alu instid0(VALU_DEP_1)
	s_and_b32 vcc_lo, exec_lo, s0
	s_cbranch_vccnz .LBB0_12
; %bb.11:
	v_cvt_f32_u32_e32 v1, s18
	s_sub_i32 s1, 0, s18
	s_delay_alu instid0(VALU_DEP_1) | instskip(SKIP_2) | instid1(VALU_DEP_1)
	v_rcp_iflag_f32_e32 v1, v1
	s_waitcnt_depctr 0xfff
	v_mul_f32_e32 v1, 0x4f7ffffe, v1
	v_cvt_u32_f32_e32 v1, v1
	s_delay_alu instid0(VALU_DEP_1) | instskip(NEXT) | instid1(VALU_DEP_1)
	v_readfirstlane_b32 s0, v1
	s_mul_i32 s1, s1, s0
	s_delay_alu instid0(SALU_CYCLE_1) | instskip(NEXT) | instid1(SALU_CYCLE_1)
	s_mul_hi_u32 s1, s0, s1
	s_add_i32 s0, s0, s1
	s_delay_alu instid0(SALU_CYCLE_1) | instskip(NEXT) | instid1(SALU_CYCLE_1)
	s_mul_hi_u32 s0, s16, s0
	s_mul_i32 s1, s0, s18
	s_add_i32 s8, s0, 1
	s_sub_i32 s1, s16, s1
	s_delay_alu instid0(SALU_CYCLE_1)
	s_sub_i32 s9, s1, s18
	s_cmp_ge_u32 s1, s18
	s_cselect_b32 s0, s8, s0
	s_cselect_b32 s1, s9, s1
	s_add_i32 s8, s0, 1
	s_cmp_ge_u32 s1, s18
	s_cselect_b32 s22, s8, s0
.LBB0_12:
	v_mul_u32_u24_e32 v1, 0x2493, v0
	s_lshl_b64 s[0:1], s[20:21], 3
	s_delay_alu instid0(SALU_CYCLE_1) | instskip(SKIP_1) | instid1(VALU_DEP_1)
	s_add_u32 s0, s10, s0
	s_addc_u32 s1, s11, s1
	v_lshrrev_b32_e32 v88, 16, v1
	s_load_b64 s[0:1], s[0:1], 0x0
	s_delay_alu instid0(VALU_DEP_1)
	v_add_nc_u32_e32 v2, 34, v88
	v_mul_lo_u16 v1, v88, 7
	scratch_store_b32 off, v2, off offset:376 ; 4-byte Folded Spill
	v_add_nc_u32_e32 v2, 51, v88
	v_sub_nc_u16 v1, v0, v1
	scratch_store_b32 off, v2, off offset:372 ; 4-byte Folded Spill
	v_add_nc_u32_e32 v2, 0x44, v88
	v_and_b32_e32 v3, 0xffff, v1
	s_waitcnt lgkmcnt(0)
	s_mul_i32 s1, s1, s22
	scratch_store_b32 off, v2, off offset:364 ; 4-byte Folded Spill
	v_add_nc_u32_e32 v2, 0x55, v88
	v_add_co_u32 v1, s9, s35, v3
	s_mul_hi_u32 s8, s0, s22
	s_mul_i32 s0, s0, s22
	scratch_store_b32 off, v2, off offset:368 ; 4-byte Folded Spill
	v_add_nc_u32_e32 v2, 0x66, v88
	s_add_i32 s8, s8, s1
	s_add_u32 s0, s0, s36
	s_addc_u32 s1, s8, s33
	s_add_u32 s8, s35, 7
	scratch_store_b32 off, v2, off offset:360 ; 4-byte Folded Spill
	v_add_nc_u32_e32 v2, 0x77, v88
	scratch_store_b32 off, v2, off offset:356 ; 4-byte Folded Spill
	v_add_nc_u32_e32 v2, 0x88, v88
	;; [unrolled: 2-line block ×3, first 2 shown]
	scratch_store_b32 off, v2, off offset:348 ; 4-byte Folded Spill
	v_add_co_ci_u32_e64 v2, null, s34, 0, s9
	s_addc_u32 s9, s34, 0
	s_delay_alu instid0(SALU_CYCLE_1) | instskip(NEXT) | instid1(VALU_DEP_2)
	v_cmp_le_u64_e64 s8, s[8:9], s[14:15]
	v_cmp_gt_u64_e32 vcc_lo, s[14:15], v[1:2]
	v_add_nc_u32_e32 v1, 0xaa, v88
	scratch_store_b32 off, v1, off offset:344 ; 4-byte Folded Spill
	v_add_nc_u32_e32 v1, 0xbb, v88
	s_or_b32 s33, s8, vcc_lo
	scratch_store_b32 off, v1, off offset:340 ; 4-byte Folded Spill
	v_add_nc_u32_e32 v1, 0xcc, v88
	scratch_store_b32 off, v1, off offset:336 ; 4-byte Folded Spill
	v_add_nc_u32_e32 v1, 0xdd, v88
	;; [unrolled: 2-line block ×5, first 2 shown]
	scratch_store_b32 off, v3, off          ; 4-byte Folded Spill
	v_mul_u32_u24_e32 v3, 0x1210, v3
	s_clause 0x1
	scratch_store_b32 off, v1, off offset:320
	scratch_store_b32 off, v3, off offset:4
	s_and_saveexec_b32 s8, s33
	s_cbranch_execz .LBB0_14
; %bb.13:
	scratch_load_b32 v9, off, off           ; 4-byte Folded Reload
	v_add_nc_u32_e32 v13, 17, v88
	v_mad_u64_u32 v[3:4], null, s4, v88, 0
	v_add_nc_u32_e32 v14, 34, v88
	s_lshl_b64 s[10:11], s[0:1], 4
	s_delay_alu instid0(VALU_DEP_3)
	v_mad_u64_u32 v[5:6], null, s4, v13, 0
	s_add_u32 s9, s2, s10
	s_addc_u32 s10, s3, s11
	v_add_nc_u32_e32 v45, 0xaa, v88
	v_add_nc_u32_e32 v48, 0xcc, v88
	;; [unrolled: 1-line block ×5, first 2 shown]
	v_mad_u64_u32 v[41:42], null, s4, v45, 0
	v_mad_u64_u32 v[49:50], null, s4, v48, 0
	v_add_nc_u32_e32 v28, 0x77, v88
	v_mad_u64_u32 v[35:36], null, s4, v38, 0
	v_mad_u64_u32 v[43:44], null, s4, v46, 0
	s_delay_alu instid0(VALU_DEP_3)
	v_mad_u64_u32 v[23:24], null, s4, v28, 0
	v_add_nc_u32_e32 v15, 51, v88
	v_add_nc_u32_e32 v29, 0x66, v88
	;; [unrolled: 1-line block ×5, first 2 shown]
	v_lshlrev_b32_e32 v69, 4, v88
	v_mad_u64_u32 v[21:22], null, s4, v29, 0
	v_mad_u64_u32 v[33:34], null, s4, v37, 0
	v_add_nc_u32_e32 v16, 0x44, v88
	v_mad_u64_u32 v[51:52], null, s4, v59, 0
	v_mad_u64_u32 v[55:56], null, s4, v61, 0
	s_delay_alu instid0(VALU_DEP_3) | instskip(SKIP_2) | instid1(VALU_DEP_1)
	v_mad_u64_u32 v[17:18], null, s4, v16, 0
	s_waitcnt vmcnt(0)
	v_mad_u64_u32 v[1:2], null, s6, v9, 0
	v_mad_u64_u32 v[7:8], null, s7, v9, v[2:3]
	v_mov_b32_e32 v2, v6
	v_mad_u64_u32 v[8:9], null, s5, v88, v[4:5]
	v_mad_u64_u32 v[9:10], null, s4, v14, 0
	s_delay_alu instid0(VALU_DEP_3) | instskip(SKIP_2) | instid1(VALU_DEP_4)
	v_mad_u64_u32 v[11:12], null, s5, v13, v[2:3]
	v_mov_b32_e32 v2, v7
	v_mad_u64_u32 v[12:13], null, s4, v15, 0
	v_dual_mov_b32 v4, v8 :: v_dual_mov_b32 v7, v10
	s_delay_alu instid0(VALU_DEP_3) | instskip(SKIP_1) | instid1(VALU_DEP_3)
	v_lshlrev_b64 v[1:2], 4, v[1:2]
	v_dual_mov_b32 v6, v11 :: v_dual_mov_b32 v11, v18
	v_lshlrev_b64 v[3:4], 4, v[3:4]
	v_add_nc_u32_e32 v18, 0x55, v88
	s_delay_alu instid0(VALU_DEP_4) | instskip(SKIP_3) | instid1(VALU_DEP_4)
	v_add_co_u32 v65, vcc_lo, s9, v1
	v_add_co_ci_u32_e32 v66, vcc_lo, s10, v2, vcc_lo
	v_lshlrev_b64 v[1:2], 4, v[5:6]
	v_mad_u64_u32 v[5:6], null, s5, v14, v[7:8]
	v_add_co_u32 v3, vcc_lo, v65, v3
	s_delay_alu instid0(VALU_DEP_4) | instskip(NEXT) | instid1(VALU_DEP_4)
	v_add_co_ci_u32_e32 v4, vcc_lo, v66, v4, vcc_lo
	v_add_co_u32 v7, vcc_lo, v65, v1
	s_delay_alu instid0(VALU_DEP_4) | instskip(SKIP_3) | instid1(VALU_DEP_4)
	v_mov_b32_e32 v10, v5
	v_mad_u64_u32 v[19:20], null, s4, v18, 0
	v_mov_b32_e32 v6, v13
	v_add_co_ci_u32_e32 v8, vcc_lo, v66, v2, vcc_lo
	v_lshlrev_b64 v[9:10], 4, v[9:10]
	s_delay_alu instid0(VALU_DEP_3)
	v_mad_u64_u32 v[13:14], null, s5, v15, v[6:7]
	s_clause 0x1
	global_load_b128 v[1:4], v[3:4], off
	global_load_b128 v[5:8], v[7:8], off
	v_add_co_u32 v9, vcc_lo, v65, v9
	v_add_co_ci_u32_e32 v10, vcc_lo, v66, v10, vcc_lo
	v_lshlrev_b64 v[12:13], 4, v[12:13]
	s_delay_alu instid0(VALU_DEP_1)
	v_mad_u64_u32 v[14:15], null, s5, v16, v[11:12]
	v_mov_b32_e32 v11, v20
	v_add_co_u32 v15, vcc_lo, v65, v12
	v_mov_b32_e32 v12, v22
	v_mov_b32_e32 v22, v24
	v_add_co_ci_u32_e32 v16, vcc_lo, v66, v13, vcc_lo
	s_delay_alu instid0(VALU_DEP_3)
	v_mad_u64_u32 v[25:26], null, s5, v18, v[11:12]
	v_mad_u64_u32 v[26:27], null, s5, v29, v[12:13]
	v_mov_b32_e32 v18, v14
	s_clause 0x1
	global_load_b128 v[9:12], v[9:10], off
	global_load_b128 v[13:16], v[15:16], off
	v_mov_b32_e32 v20, v25
	v_lshlrev_b64 v[17:18], 4, v[17:18]
	v_mad_u64_u32 v[24:25], null, s5, v28, v[22:23]
	v_mov_b32_e32 v22, v26
	s_delay_alu instid0(VALU_DEP_4) | instskip(NEXT) | instid1(VALU_DEP_4)
	v_lshlrev_b64 v[19:20], 4, v[19:20]
	v_add_co_u32 v17, vcc_lo, v65, v17
	s_delay_alu instid0(VALU_DEP_3) | instskip(SKIP_1) | instid1(VALU_DEP_4)
	v_lshlrev_b64 v[21:22], 4, v[21:22]
	v_add_co_ci_u32_e32 v18, vcc_lo, v66, v18, vcc_lo
	v_add_co_u32 v25, vcc_lo, v65, v19
	v_add_co_ci_u32_e32 v26, vcc_lo, v66, v20, vcc_lo
	v_lshlrev_b64 v[19:20], 4, v[23:24]
	v_add_co_u32 v27, vcc_lo, v65, v21
	v_mov_b32_e32 v21, v34
	v_add_co_ci_u32_e32 v28, vcc_lo, v66, v22, vcc_lo
	v_mov_b32_e32 v22, v36
	v_add_co_u32 v29, vcc_lo, v65, v19
	v_add_co_ci_u32_e32 v30, vcc_lo, v66, v20, vcc_lo
	s_delay_alu instid0(VALU_DEP_3)
	v_mad_u64_u32 v[31:32], null, s5, v37, v[21:22]
	v_mad_u64_u32 v[36:37], null, s5, v38, v[22:23]
	v_mov_b32_e32 v38, v44
	s_clause 0x1
	global_load_b128 v[17:20], v[17:18], off
	global_load_b128 v[21:24], v[25:26], off
	v_dual_mov_b32 v37, v42 :: v_dual_mov_b32 v34, v31
	s_clause 0x1
	global_load_b128 v[25:28], v[27:28], off
	global_load_b128 v[29:32], v[29:30], off
	v_lshlrev_b64 v[35:36], 4, v[35:36]
	v_mad_u64_u32 v[39:40], null, s5, v45, v[37:38]
	v_lshlrev_b64 v[33:34], 4, v[33:34]
	s_delay_alu instid0(VALU_DEP_2) | instskip(SKIP_1) | instid1(VALU_DEP_3)
	v_mad_u64_u32 v[44:45], null, s5, v46, v[38:39]
	v_dual_mov_b32 v42, v39 :: v_dual_mov_b32 v45, v50
	v_add_co_u32 v33, vcc_lo, v65, v33
	s_delay_alu instid0(VALU_DEP_4) | instskip(NEXT) | instid1(VALU_DEP_3)
	v_add_co_ci_u32_e32 v34, vcc_lo, v66, v34, vcc_lo
	v_lshlrev_b64 v[41:42], 4, v[41:42]
	s_delay_alu instid0(VALU_DEP_4) | instskip(SKIP_4) | instid1(VALU_DEP_4)
	v_mad_u64_u32 v[46:47], null, s5, v48, v[45:46]
	v_add_nc_u32_e32 v45, 0xee, v88
	v_add_co_u32 v37, vcc_lo, v65, v35
	v_lshlrev_b64 v[43:44], 4, v[43:44]
	v_add_co_ci_u32_e32 v38, vcc_lo, v66, v36, vcc_lo
	v_mad_u64_u32 v[53:54], null, s4, v45, 0
	v_add_co_u32 v41, vcc_lo, v65, v41
	v_add_co_ci_u32_e32 v42, vcc_lo, v66, v42, vcc_lo
	v_add_co_u32 v47, vcc_lo, v65, v43
	v_add_co_ci_u32_e32 v48, vcc_lo, v66, v44, vcc_lo
	v_dual_mov_b32 v43, v52 :: v_dual_mov_b32 v44, v54
	v_mov_b32_e32 v50, v46
	s_clause 0x1
	global_load_b128 v[33:36], v[33:34], off
	global_load_b128 v[37:40], v[37:38], off
	v_mad_u64_u32 v[57:58], null, s5, v59, v[43:44]
	v_mad_u64_u32 v[58:59], null, s5, v45, v[44:45]
	;; [unrolled: 1-line block ×3, first 2 shown]
	v_lshlrev_b64 v[49:50], 4, v[49:50]
	s_clause 0x1
	global_load_b128 v[41:44], v[41:42], off
	global_load_b128 v[45:48], v[47:48], off
	v_mov_b32_e32 v52, v57
	v_mov_b32_e32 v54, v58
	v_mad_u64_u32 v[57:58], null, s5, v61, v[56:57]
	v_mov_b32_e32 v56, v60
	s_delay_alu instid0(VALU_DEP_4)
	v_lshlrev_b64 v[51:52], 4, v[51:52]
	v_add_co_u32 v49, vcc_lo, v65, v49
	v_lshlrev_b64 v[53:54], 4, v[53:54]
	v_add_co_ci_u32_e32 v50, vcc_lo, v66, v50, vcc_lo
	v_mad_u64_u32 v[60:61], null, s5, v62, v[56:57]
	v_mov_b32_e32 v56, v57
	v_add_co_u32 v57, vcc_lo, v65, v51
	v_add_co_ci_u32_e32 v58, vcc_lo, v66, v52, vcc_lo
	s_delay_alu instid0(VALU_DEP_3) | instskip(SKIP_3) | instid1(VALU_DEP_4)
	v_lshlrev_b64 v[51:52], 4, v[55:56]
	v_add_co_u32 v61, vcc_lo, v65, v53
	v_add_co_ci_u32_e32 v62, vcc_lo, v66, v54, vcc_lo
	v_lshlrev_b64 v[53:54], 4, v[59:60]
	v_add_co_u32 v63, vcc_lo, v65, v51
	v_add_co_ci_u32_e32 v64, vcc_lo, v66, v52, vcc_lo
	s_delay_alu instid0(VALU_DEP_3) | instskip(NEXT) | instid1(VALU_DEP_4)
	v_add_co_u32 v65, vcc_lo, v65, v53
	v_add_co_ci_u32_e32 v66, vcc_lo, v66, v54, vcc_lo
	s_clause 0x4
	global_load_b128 v[49:52], v[49:50], off
	global_load_b128 v[53:56], v[57:58], off
	;; [unrolled: 1-line block ×5, first 2 shown]
	scratch_load_b32 v70, off, off offset:4 ; 4-byte Folded Reload
	s_waitcnt vmcnt(0)
	v_add3_u32 v69, 0, v70, v69
	ds_store_b128 v69, v[1:4]
	ds_store_b128 v69, v[5:8] offset:272
	ds_store_b128 v69, v[9:12] offset:544
	;; [unrolled: 1-line block ×16, first 2 shown]
.LBB0_14:
	s_or_b32 exec_lo, exec_lo, s8
	s_add_u32 s8, 0, 0x92481000
	s_addc_u32 s9, 0, 0x64
	s_mul_hi_u32 s11, s8, -7
	s_add_i32 s9, s9, 0x249248c0
	v_and_b32_e32 v1, 0xffff, v0
	s_sub_i32 s11, s11, s8
	s_mul_i32 s15, s9, -7
	s_mul_i32 s10, s8, -7
	s_add_i32 s11, s11, s15
	s_mul_hi_u32 s14, s9, s10
	s_mul_i32 s15, s9, s10
	s_mul_i32 s16, s8, s11
	s_mul_hi_u32 s10, s8, s10
	v_mul_u32_u24_e32 v1, 0xf10, v1
	s_mul_hi_u32 s17, s8, s11
	s_add_u32 s10, s10, s16
	s_addc_u32 s16, 0, s17
	s_mul_hi_u32 s17, s9, s11
	s_add_u32 s10, s10, s15
	s_addc_u32 s10, s16, s14
	s_mul_i32 s11, s9, s11
	v_lshrrev_b32_e32 v5, 16, v1
	s_addc_u32 s14, s17, 0
	s_add_u32 s10, s10, s11
	s_mov_b32 s42, 0x5d8e7cdc
	v_add_co_u32 v6, s8, s8, s10
	s_addc_u32 s10, 0, s14
	s_cmp_lg_u32 s8, 0
	v_add_co_u32 v7, s8, s35, v5
	s_addc_u32 s9, s9, s10
	v_add_co_ci_u32_e64 v8, null, s34, 0, s8
	s_delay_alu instid0(VALU_DEP_2) | instskip(SKIP_1) | instid1(VALU_DEP_3)
	v_mad_u64_u32 v[1:2], null, v7, s9, 0
	v_mul_hi_u32 v9, v7, v6
	v_mad_u64_u32 v[3:4], null, v8, v6, 0
	s_mov_b32 s58, 0x2a9d6da3
	s_mov_b32 s54, 0x7c9e640b
	;; [unrolled: 1-line block ×5, first 2 shown]
	s_delay_alu instid0(VALU_DEP_2) | instskip(SKIP_2) | instid1(VALU_DEP_3)
	v_add_co_u32 v6, vcc_lo, v9, v1
	v_add_co_ci_u32_e32 v9, vcc_lo, 0, v2, vcc_lo
	v_mad_u64_u32 v[1:2], null, v8, s9, 0
	v_add_co_u32 v3, vcc_lo, v6, v3
	s_delay_alu instid0(VALU_DEP_3) | instskip(SKIP_2) | instid1(VALU_DEP_3)
	v_add_co_ci_u32_e32 v3, vcc_lo, v9, v4, vcc_lo
	s_mov_b32 s40, 0x4363dd80
	s_mov_b32 s26, 0xacd6c6b4
	v_add_co_ci_u32_e32 v2, vcc_lo, 0, v2, vcc_lo
	s_delay_alu instid0(VALU_DEP_2) | instskip(SKIP_1) | instid1(VALU_DEP_2)
	v_add_co_u32 v3, vcc_lo, v3, v1
	s_mov_b32 s43, 0xbfd71e95
	v_add_co_ci_u32_e32 v6, vcc_lo, 0, v2, vcc_lo
	s_delay_alu instid0(VALU_DEP_2)
	v_mad_u64_u32 v[1:2], null, v3, 7, 0
	s_mov_b32 s59, 0xbfe58eea
	s_mov_b32 s55, 0xbfeca52d
	;; [unrolled: 1-line block ×6, first 2 shown]
	s_delay_alu instid0(VALU_DEP_1)
	v_mad_u64_u32 v[3:4], null, v6, 7, v[2:3]
	v_sub_co_u32 v1, vcc_lo, v7, v1
	s_mov_b32 s27, 0xbfc7851a
	s_mov_b32 s24, 0x370991
	;; [unrolled: 1-line block ×4, first 2 shown]
	s_delay_alu instid0(VALU_DEP_2) | instskip(SKIP_2) | instid1(VALU_DEP_2)
	v_sub_co_ci_u32_e32 v2, vcc_lo, v8, v3, vcc_lo
	v_sub_co_u32 v3, vcc_lo, v1, 7
	s_mov_b32 s18, 0x3259b75e
	v_subrev_co_ci_u32_e32 v4, vcc_lo, 0, v2, vcc_lo
	s_delay_alu instid0(VALU_DEP_2)
	v_cmp_lt_u32_e32 vcc_lo, 6, v3
	s_mov_b32 s16, 0xc61f0d01
	s_mov_b32 s14, 0x6ed5f1bb
	;; [unrolled: 1-line block ×4, first 2 shown]
	v_cndmask_b32_e64 v6, 0, -1, vcc_lo
	v_cmp_lt_u32_e32 vcc_lo, 6, v1
	s_mov_b32 s25, 0x3fedd6d0
	s_mov_b32 s23, 0x3fe7a5f6
	;; [unrolled: 1-line block ×4, first 2 shown]
	v_cndmask_b32_e64 v7, 0, -1, vcc_lo
	v_cmp_eq_u32_e32 vcc_lo, 0, v4
	s_mov_b32 s17, 0xbfd183b1
	s_mov_b32 s15, 0xbfe348c8
	;; [unrolled: 1-line block ×4, first 2 shown]
	v_cndmask_b32_e32 v4, -1, v6, vcc_lo
	v_cmp_eq_u32_e32 vcc_lo, 0, v2
	v_add_nc_u32_e32 v6, -7, v3
	s_mov_b32 s49, 0x3fd71e95
	s_mov_b32 s48, s42
	;; [unrolled: 1-line block ×3, first 2 shown]
	v_cndmask_b32_e32 v2, -1, v7, vcc_lo
	v_cmp_ne_u32_e32 vcc_lo, 0, v4
	v_mul_lo_u16 v4, v5, 17
	s_mov_b32 s35, 0x3fc7851a
	s_mov_b32 s44, s56
	;; [unrolled: 1-line block ×3, first 2 shown]
	v_cndmask_b32_e32 v3, v3, v6, vcc_lo
	v_cmp_ne_u32_e32 vcc_lo, 0, v2
	v_sub_nc_u16 v0, v0, v4
	s_mov_b32 s53, 0x3fe58eea
	s_mov_b32 s51, 0x3feca52d
	s_mov_b32 s47, 0x3fefdd0d
	s_delay_alu instid0(VALU_DEP_1) | instskip(SKIP_3) | instid1(VALU_DEP_1)
	v_dual_cndmask_b32 v1, v1, v3 :: v_dual_and_b32 v188, 0xffff, v0
	s_mov_b32 s39, 0x3fe9895b
	s_mov_b32 s37, 0x3fe0d888
	;; [unrolled: 1-line block ×3, first 2 shown]
	v_mul_u32_u24_e32 v1, 0x121, v1
	s_mov_b32 s50, s54
	s_mov_b32 s46, s30
	s_mov_b32 s38, s28
	s_mov_b32 s36, s40
	v_lshlrev_b32_e32 v0, 4, v1
	v_lshlrev_b32_e32 v1, 4, v188
	s_delay_alu instid0(VALU_DEP_2) | instskip(NEXT) | instid1(VALU_DEP_2)
	v_add_nc_u32_e32 v2, 0, v0
	v_add3_u32 v89, 0, v1, v0
	s_delay_alu instid0(VALU_DEP_2)
	v_add_nc_u32_e32 v255, v2, v1
	scratch_store_b32 off, v2, off offset:8 ; 4-byte Folded Spill
	s_waitcnt lgkmcnt(0)
	s_waitcnt_vscnt null, 0x0
	s_barrier
	buffer_gl0_inv
	ds_load_b128 v[4:7], v89 offset:272
	ds_load_b128 v[0:3], v255
	ds_load_b128 v[8:11], v89 offset:544
	ds_load_b128 v[12:15], v89 offset:816
	s_waitcnt lgkmcnt(2)
	v_add_f64 v[16:17], v[0:1], v[4:5]
	v_add_f64 v[18:19], v[2:3], v[6:7]
	s_waitcnt lgkmcnt(1)
	s_delay_alu instid0(VALU_DEP_2) | instskip(NEXT) | instid1(VALU_DEP_2)
	v_add_f64 v[16:17], v[16:17], v[8:9]
	v_add_f64 v[18:19], v[18:19], v[10:11]
	s_waitcnt lgkmcnt(0)
	s_delay_alu instid0(VALU_DEP_2) | instskip(NEXT) | instid1(VALU_DEP_2)
	v_add_f64 v[24:25], v[16:17], v[12:13]
	v_add_f64 v[26:27], v[18:19], v[14:15]
	ds_load_b128 v[16:19], v89 offset:1088
	ds_load_b128 v[20:23], v89 offset:1360
	s_waitcnt lgkmcnt(1)
	v_add_f64 v[24:25], v[24:25], v[16:17]
	v_add_f64 v[26:27], v[26:27], v[18:19]
	s_waitcnt lgkmcnt(0)
	s_delay_alu instid0(VALU_DEP_2) | instskip(NEXT) | instid1(VALU_DEP_2)
	v_add_f64 v[32:33], v[24:25], v[20:21]
	v_add_f64 v[34:35], v[26:27], v[22:23]
	ds_load_b128 v[24:27], v89 offset:1632
	ds_load_b128 v[28:31], v89 offset:1904
	s_waitcnt lgkmcnt(1)
	;; [unrolled: 9-line block ×3, first 2 shown]
	v_add_f64 v[100:101], v[34:35], v[38:39]
	v_add_f64 v[116:117], v[34:35], -v[38:39]
	v_add_f64 v[42:43], v[40:41], v[32:33]
	v_add_f64 v[44:45], v[44:45], v[34:35]
	;; [unrolled: 1-line block ×3, first 2 shown]
	v_add_f64 v[32:33], v[32:33], -v[36:37]
	v_mul_f64 v[128:129], v[100:101], s[24:25]
	v_mul_f64 v[124:125], v[116:117], s[48:49]
	v_mul_f64 v[174:175], v[116:117], s[40:41]
	v_mul_f64 v[178:179], v[100:101], s[10:11]
	v_mul_f64 v[245:246], v[116:117], s[52:53]
	v_mul_f64 v[247:248], v[100:101], s[22:23]
	v_add_f64 v[46:47], v[42:43], v[36:37]
	v_add_f64 v[48:49], v[44:45], v[38:39]
	ds_load_b128 v[36:39], v89 offset:2720
	ds_load_b128 v[42:45], v89 offset:2992
	s_waitcnt lgkmcnt(1)
	v_add_f64 v[34:35], v[28:29], v[36:37]
	v_add_f64 v[126:127], v[30:31], v[38:39]
	v_add_f64 v[28:29], v[28:29], -v[36:37]
	v_add_f64 v[130:131], v[30:31], -v[38:39]
	s_waitcnt lgkmcnt(0)
	v_add_f64 v[30:31], v[24:25], v[42:43]
	v_add_f64 v[132:133], v[26:27], v[44:45]
	v_add_f64 v[24:25], v[24:25], -v[42:43]
	v_add_f64 v[134:135], v[26:27], -v[44:45]
	v_add_f64 v[36:37], v[46:47], v[36:37]
	v_add_f64 v[38:39], v[48:49], v[38:39]
	v_mul_f64 v[122:123], v[126:127], s[20:21]
	v_mul_f64 v[168:169], v[126:127], s[18:19]
	;; [unrolled: 1-line block ×13, first 2 shown]
	v_add_f64 v[50:51], v[36:37], v[42:43]
	v_add_f64 v[38:39], v[38:39], v[44:45]
	ds_load_b128 v[42:45], v89 offset:3264
	ds_load_b128 v[46:49], v89 offset:3536
	s_waitcnt lgkmcnt(1)
	v_add_f64 v[26:27], v[20:21], v[42:43]
	v_add_f64 v[136:137], v[22:23], v[44:45]
	v_add_f64 v[36:37], v[20:21], -v[42:43]
	v_add_f64 v[138:139], v[22:23], -v[44:45]
	s_waitcnt lgkmcnt(0)
	v_add_f64 v[140:141], v[18:19], v[48:49]
	v_add_f64 v[142:143], v[18:19], -v[48:49]
	v_add_f64 v[20:21], v[50:51], v[42:43]
	v_add_f64 v[22:23], v[38:39], v[44:45]
	;; [unrolled: 1-line block ×3, first 2 shown]
	v_add_f64 v[42:43], v[16:17], -v[46:47]
	v_mul_f64 v[112:113], v[136:137], s[10:11]
	v_mul_f64 v[160:161], v[136:137], s[22:23]
	;; [unrolled: 1-line block ×8, first 2 shown]
	v_add_f64 v[50:51], v[20:21], v[46:47]
	v_add_f64 v[48:49], v[22:23], v[48:49]
	ds_load_b128 v[16:19], v89 offset:3808
	ds_load_b128 v[20:23], v89 offset:4080
	s_waitcnt lgkmcnt(1)
	v_add_f64 v[44:45], v[12:13], v[16:17]
	v_add_f64 v[158:159], v[14:15], v[18:19]
	v_add_f64 v[46:47], v[12:13], -v[16:17]
	v_add_f64 v[170:171], v[14:15], -v[18:19]
	s_waitcnt lgkmcnt(0)
	v_add_f64 v[172:173], v[10:11], v[22:23]
	v_add_f64 v[176:177], v[10:11], -v[22:23]
	v_add_f64 v[12:13], v[50:51], v[16:17]
	v_add_f64 v[14:15], v[48:49], v[18:19]
	v_add_f64 v[48:49], v[8:9], v[20:21]
	v_add_f64 v[50:51], v[8:9], -v[20:21]
	ds_load_b128 v[8:11], v89 offset:4352
	v_mul_f64 v[227:228], v[158:159], s[16:17]
	v_mul_f64 v[186:187], v[158:159], s[22:23]
	s_waitcnt lgkmcnt(0)
	v_add_f64 v[16:17], v[6:7], -v[10:11]
	v_add_f64 v[18:19], v[4:5], v[8:9]
	v_mul_f64 v[144:145], v[176:177], s[28:29]
	v_mul_f64 v[221:222], v[176:177], s[26:27]
	;; [unrolled: 1-line block ×7, first 2 shown]
	v_add_f64 v[12:13], v[12:13], v[20:21]
	v_add_f64 v[14:15], v[14:15], v[22:23]
	;; [unrolled: 1-line block ×3, first 2 shown]
	v_add_f64 v[22:23], v[4:5], -v[8:9]
	v_mul_f64 v[6:7], v[132:133], s[22:23]
	v_mul_f64 v[52:53], v[16:17], s[56:57]
	;; [unrolled: 1-line block ×4, first 2 shown]
	v_add_f64 v[180:181], v[12:13], v[8:9]
	v_add_f64 v[182:183], v[14:15], v[10:11]
	v_mul_f64 v[8:9], v[16:17], s[42:43]
	v_mul_f64 v[10:11], v[16:17], s[58:59]
	;; [unrolled: 1-line block ×8, first 2 shown]
	v_fma_f64 v[66:67], v[18:19], s[16:17], v[52:53]
	v_fma_f64 v[68:69], v[18:19], s[16:17], -v[52:53]
	v_fma_f64 v[70:71], v[18:19], s[14:15], v[54:55]
	v_fma_f64 v[72:73], v[18:19], s[14:15], -v[54:55]
	;; [unrolled: 2-line block ×3, first 2 shown]
	v_mul_f64 v[52:53], v[20:21], s[22:23]
	v_mul_f64 v[54:55], v[20:21], s[20:21]
	;; [unrolled: 1-line block ×3, first 2 shown]
	v_fma_f64 v[58:59], v[18:19], s[24:25], v[8:9]
	v_fma_f64 v[8:9], v[18:19], s[24:25], -v[8:9]
	v_fma_f64 v[60:61], v[18:19], s[22:23], v[10:11]
	v_fma_f64 v[10:11], v[18:19], s[22:23], -v[10:11]
	;; [unrolled: 2-line block ×5, first 2 shown]
	v_mul_f64 v[18:19], v[20:21], s[24:25]
	v_mul_f64 v[20:21], v[20:21], s[8:9]
	v_fma_f64 v[104:105], v[22:23], s[44:45], v[80:81]
	v_fma_f64 v[80:81], v[22:23], s[56:57], v[80:81]
	;; [unrolled: 1-line block ×6, first 2 shown]
	v_add_f64 v[193:194], v[0:1], v[66:67]
	v_mul_f64 v[66:67], v[126:127], s[24:25]
	v_add_f64 v[197:198], v[0:1], v[70:71]
	v_add_f64 v[201:202], v[0:1], v[72:73]
	;; [unrolled: 1-line block ×4, first 2 shown]
	v_fma_f64 v[92:93], v[22:23], s[58:59], v[52:53]
	v_fma_f64 v[96:97], v[22:23], s[54:55], v[54:55]
	;; [unrolled: 1-line block ×6, first 2 shown]
	v_mul_f64 v[70:71], v[142:143], s[44:45]
	v_mul_f64 v[52:53], v[142:143], s[54:55]
	v_mul_f64 v[54:55], v[140:141], s[20:21]
	v_mul_f64 v[56:57], v[138:139], s[26:27]
	v_add_f64 v[4:5], v[0:1], v[8:9]
	v_add_f64 v[8:9], v[0:1], v[60:61]
	v_mul_f64 v[60:61], v[134:135], s[46:47]
	v_add_f64 v[146:147], v[0:1], v[62:63]
	v_mul_f64 v[62:63], v[130:131], s[42:43]
	;; [unrolled: 2-line block ×3, first 2 shown]
	v_add_f64 v[213:214], v[0:1], v[78:79]
	v_fma_f64 v[86:87], v[22:23], s[48:49], v[18:19]
	v_fma_f64 v[18:19], v[22:23], s[42:43], v[18:19]
	;; [unrolled: 1-line block ×4, first 2 shown]
	v_add_f64 v[22:23], v[0:1], v[58:59]
	v_add_f64 v[195:196], v[2:3], v[104:105]
	;; [unrolled: 1-line block ×6, first 2 shown]
	v_mul_f64 v[84:85], v[116:117], s[26:27]
	v_mul_f64 v[104:105], v[158:159], s[14:15]
	;; [unrolled: 1-line block ×5, first 2 shown]
	v_add_f64 v[148:149], v[2:3], v[94:95]
	v_add_f64 v[191:192], v[2:3], v[98:99]
	v_mul_f64 v[98:99], v[172:173], s[18:19]
	scratch_store_b64 off, v[4:5], off offset:16 ; 8-byte Folded Spill
	v_add_f64 v[86:87], v[2:3], v[86:87]
	v_add_f64 v[4:5], v[2:3], v[18:19]
	;; [unrolled: 1-line block ×4, first 2 shown]
	v_mul_f64 v[90:91], v[126:127], s[10:11]
	v_mul_f64 v[110:111], v[138:139], s[36:37]
	scratch_store_b64 off, v[4:5], off offset:24 ; 8-byte Folded Spill
	v_add_f64 v[4:5], v[0:1], v[10:11]
	scratch_store_b64 off, v[4:5], off offset:40 ; 8-byte Folded Spill
	v_add_f64 v[4:5], v[2:3], v[92:93]
	v_add_f64 v[92:93], v[0:1], v[16:17]
	scratch_store_b64 off, v[4:5], off offset:32 ; 8-byte Folded Spill
	v_add_f64 v[4:5], v[0:1], v[12:13]
	scratch_store_b64 off, v[4:5], off offset:136 ; 8-byte Folded Spill
	v_add_f64 v[4:5], v[2:3], v[96:97]
	v_mul_f64 v[96:97], v[176:177], s[30:31]
	scratch_store_b64 off, v[4:5], off offset:128 ; 8-byte Folded Spill
	v_add_f64 v[4:5], v[0:1], v[14:15]
	scratch_store_b64 off, v[4:5], off offset:152 ; 8-byte Folded Spill
	v_add_f64 v[4:5], v[2:3], v[102:103]
	v_mul_f64 v[102:103], v[170:171], s[28:29]
	scratch_store_b64 off, v[4:5], off offset:144 ; 8-byte Folded Spill
	v_add_f64 v[4:5], v[0:1], v[68:69]
	v_add_f64 v[0:1], v[2:3], v[20:21]
	v_fma_f64 v[12:13], v[44:45], s[14:15], v[102:103]
	v_mul_f64 v[68:69], v[158:159], s[8:9]
	v_fma_f64 v[20:21], v[44:45], s[16:17], v[225:226]
	scratch_store_b64 off, v[4:5], off offset:168 ; 8-byte Folded Spill
	v_add_f64 v[4:5], v[2:3], v[80:81]
	scratch_store_b64 off, v[0:1], off offset:176 ; 8-byte Folded Spill
	v_mul_f64 v[0:1], v[176:177], s[58:59]
	v_mul_f64 v[2:3], v[172:173], s[22:23]
	scratch_store_b64 off, v[4:5], off offset:160 ; 8-byte Folded Spill
	v_mul_f64 v[4:5], v[170:171], s[54:55]
	s_clause 0x1
	scratch_store_b64 off, v[0:1], off offset:48
	scratch_store_b64 off, v[2:3], off offset:56
	v_fma_f64 v[0:1], v[48:49], s[22:23], v[0:1]
	v_fma_f64 v[2:3], v[50:51], s[52:53], v[2:3]
	scratch_store_b64 off, v[4:5], off offset:64 ; 8-byte Folded Spill
	v_fma_f64 v[10:11], v[44:45], s[20:21], v[4:5]
	v_mul_f64 v[4:5], v[158:159], s[20:21]
	v_add_f64 v[0:1], v[0:1], v[22:23]
	v_add_f64 v[2:3], v[2:3], v[86:87]
	v_mul_f64 v[86:87], v[100:101], s[8:9]
	v_fma_f64 v[22:23], v[50:51], s[40:41], v[251:252]
	scratch_store_b64 off, v[4:5], off offset:72 ; 8-byte Folded Spill
	v_add_f64 v[0:1], v[10:11], v[0:1]
	v_fma_f64 v[10:11], v[46:47], s[50:51], v[4:5]
	v_mul_f64 v[4:5], v[142:143], s[30:31]
	v_add_f64 v[22:23], v[22:23], v[195:196]
	v_mul_f64 v[195:196], v[170:171], s[42:43]
	s_delay_alu instid0(VALU_DEP_4) | instskip(SKIP_3) | instid1(VALU_DEP_2)
	v_add_f64 v[2:3], v[10:11], v[2:3]
	scratch_store_b64 off, v[4:5], off offset:80 ; 8-byte Folded Spill
	v_fma_f64 v[10:11], v[38:39], s[18:19], v[4:5]
	v_mul_f64 v[4:5], v[140:141], s[18:19]
	v_add_f64 v[0:1], v[10:11], v[0:1]
	scratch_store_b64 off, v[4:5], off offset:88 ; 8-byte Folded Spill
	v_fma_f64 v[10:11], v[42:43], s[46:47], v[4:5]
	v_mul_f64 v[4:5], v[138:139], s[56:57]
	s_delay_alu instid0(VALU_DEP_2) | instskip(SKIP_3) | instid1(VALU_DEP_2)
	v_add_f64 v[2:3], v[10:11], v[2:3]
	scratch_store_b64 off, v[4:5], off offset:96 ; 8-byte Folded Spill
	v_fma_f64 v[10:11], v[26:27], s[16:17], v[4:5]
	v_mul_f64 v[4:5], v[136:137], s[16:17]
	v_add_f64 v[0:1], v[10:11], v[0:1]
	scratch_store_b64 off, v[4:5], off offset:104 ; 8-byte Folded Spill
	v_fma_f64 v[10:11], v[36:37], s[44:45], v[4:5]
	v_mul_f64 v[4:5], v[134:135], s[28:29]
	s_delay_alu instid0(VALU_DEP_2) | instskip(NEXT) | instid1(VALU_DEP_2)
	v_add_f64 v[2:3], v[10:11], v[2:3]
	v_fma_f64 v[10:11], v[30:31], s[14:15], v[4:5]
	scratch_store_b64 off, v[4:5], off offset:112 ; 8-byte Folded Spill
	v_mul_f64 v[4:5], v[130:131], s[40:41]
	v_add_f64 v[0:1], v[10:11], v[0:1]
	v_fma_f64 v[10:11], v[24:25], s[38:39], v[184:185]
	scratch_store_b64 off, v[4:5], off offset:120 ; 8-byte Folded Spill
	v_add_f64 v[2:3], v[10:11], v[2:3]
	v_fma_f64 v[10:11], v[34:35], s[10:11], v[4:5]
	v_mul_f64 v[4:5], v[130:131], s[26:27]
	s_delay_alu instid0(VALU_DEP_2) | instskip(SKIP_1) | instid1(VALU_DEP_1)
	v_add_f64 v[0:1], v[10:11], v[0:1]
	v_fma_f64 v[10:11], v[28:29], s[36:37], v[90:91]
	v_add_f64 v[2:3], v[10:11], v[2:3]
	v_fma_f64 v[10:11], v[40:41], s[8:9], v[84:85]
	s_delay_alu instid0(VALU_DEP_1) | instskip(SKIP_2) | instid1(VALU_DEP_2)
	v_add_f64 v[80:81], v[10:11], v[0:1]
	v_fma_f64 v[10:11], v[32:33], s[34:35], v[86:87]
	v_mul_f64 v[0:1], v[116:117], s[50:51]
	v_add_f64 v[82:83], v[10:11], v[2:3]
	v_fma_f64 v[10:11], v[48:49], s[18:19], v[96:97]
	v_fma_f64 v[2:3], v[38:39], s[20:21], v[52:53]
	s_delay_alu instid0(VALU_DEP_2) | instskip(SKIP_1) | instid1(VALU_DEP_2)
	v_add_f64 v[8:9], v[10:11], v[8:9]
	v_fma_f64 v[10:11], v[50:51], s[46:47], v[98:99]
	v_add_f64 v[8:9], v[12:13], v[8:9]
	s_delay_alu instid0(VALU_DEP_2) | instskip(SKIP_2) | instid1(VALU_DEP_2)
	v_add_f64 v[10:11], v[10:11], v[18:19]
	v_fma_f64 v[12:13], v[46:47], s[38:39], v[104:105]
	v_fma_f64 v[18:19], v[50:51], s[34:35], v[223:224]
	v_add_f64 v[10:11], v[12:13], v[10:11]
	v_fma_f64 v[12:13], v[38:39], s[8:9], v[106:107]
	s_delay_alu instid0(VALU_DEP_3) | instskip(SKIP_1) | instid1(VALU_DEP_3)
	v_add_f64 v[18:19], v[18:19], v[191:192]
	v_fma_f64 v[191:192], v[44:45], s[24:25], v[195:196]
	v_add_f64 v[8:9], v[12:13], v[8:9]
	v_fma_f64 v[12:13], v[42:43], s[34:35], v[108:109]
	s_delay_alu instid0(VALU_DEP_1) | instskip(SKIP_1) | instid1(VALU_DEP_1)
	v_add_f64 v[10:11], v[12:13], v[10:11]
	v_fma_f64 v[12:13], v[26:27], s[10:11], v[110:111]
	v_add_f64 v[8:9], v[12:13], v[8:9]
	v_fma_f64 v[12:13], v[36:37], s[40:41], v[112:113]
	s_delay_alu instid0(VALU_DEP_1) | instskip(SKIP_1) | instid1(VALU_DEP_1)
	;; [unrolled: 5-line block ×4, first 2 shown]
	v_add_f64 v[10:11], v[12:13], v[10:11]
	v_fma_f64 v[12:13], v[40:41], s[24:25], v[124:125]
	v_add_f64 v[150:151], v[12:13], v[8:9]
	v_fma_f64 v[12:13], v[32:33], s[42:43], v[128:129]
	v_mul_f64 v[8:9], v[134:135], s[58:59]
	s_delay_alu instid0(VALU_DEP_2) | instskip(SKIP_2) | instid1(VALU_DEP_2)
	v_add_f64 v[152:153], v[12:13], v[10:11]
	v_fma_f64 v[12:13], v[48:49], s[14:15], v[144:145]
	v_mul_f64 v[10:11], v[136:137], s[18:19]
	v_add_f64 v[12:13], v[12:13], v[146:147]
	v_mul_f64 v[146:147], v[172:173], s[14:15]
	s_delay_alu instid0(VALU_DEP_1) | instskip(NEXT) | instid1(VALU_DEP_1)
	v_fma_f64 v[14:15], v[50:51], s[38:39], v[146:147]
	v_add_f64 v[14:15], v[14:15], v[148:149]
	v_mul_f64 v[148:149], v[170:171], s[34:35]
	s_delay_alu instid0(VALU_DEP_1) | instskip(NEXT) | instid1(VALU_DEP_1)
	v_fma_f64 v[16:17], v[44:45], s[8:9], v[148:149]
	v_add_f64 v[12:13], v[16:17], v[12:13]
	v_fma_f64 v[16:17], v[46:47], s[26:27], v[68:69]
	s_delay_alu instid0(VALU_DEP_1) | instskip(SKIP_1) | instid1(VALU_DEP_1)
	v_add_f64 v[14:15], v[16:17], v[14:15]
	v_fma_f64 v[16:17], v[38:39], s[16:17], v[70:71]
	v_add_f64 v[12:13], v[16:17], v[12:13]
	v_fma_f64 v[16:17], v[42:43], s[56:57], v[154:155]
	s_delay_alu instid0(VALU_DEP_1) | instskip(SKIP_1) | instid1(VALU_DEP_1)
	v_add_f64 v[14:15], v[16:17], v[14:15]
	;; [unrolled: 5-line block ×5, first 2 shown]
	v_fma_f64 v[16:17], v[40:41], s[10:11], v[174:175]
	v_add_f64 v[76:77], v[16:17], v[12:13]
	v_fma_f64 v[16:17], v[32:33], s[36:37], v[178:179]
	v_mul_f64 v[12:13], v[138:139], s[46:47]
	s_delay_alu instid0(VALU_DEP_2) | instskip(SKIP_1) | instid1(VALU_DEP_1)
	v_add_f64 v[78:79], v[16:17], v[14:15]
	v_fma_f64 v[16:17], v[48:49], s[8:9], v[221:222]
	v_add_f64 v[16:17], v[16:17], v[189:190]
	v_fma_f64 v[189:190], v[44:45], s[22:23], v[253:254]
	s_delay_alu instid0(VALU_DEP_2) | instskip(SKIP_1) | instid1(VALU_DEP_1)
	v_add_f64 v[16:17], v[20:21], v[16:17]
	v_fma_f64 v[20:21], v[46:47], s[56:57], v[227:228]
	v_add_f64 v[18:19], v[20:21], v[18:19]
	v_fma_f64 v[20:21], v[38:39], s[24:25], v[229:230]
	s_delay_alu instid0(VALU_DEP_1) | instskip(SKIP_1) | instid1(VALU_DEP_1)
	v_add_f64 v[16:17], v[20:21], v[16:17]
	v_fma_f64 v[20:21], v[42:43], s[42:43], v[231:232]
	v_add_f64 v[18:19], v[20:21], v[18:19]
	v_fma_f64 v[20:21], v[26:27], s[20:21], v[233:234]
	s_delay_alu instid0(VALU_DEP_1) | instskip(SKIP_1) | instid1(VALU_DEP_1)
	;; [unrolled: 5-line block ×4, first 2 shown]
	v_add_f64 v[16:17], v[20:21], v[16:17]
	v_fma_f64 v[20:21], v[28:29], s[28:29], v[243:244]
	v_add_f64 v[18:19], v[20:21], v[18:19]
	v_fma_f64 v[20:21], v[40:41], s[22:23], v[245:246]
	s_delay_alu instid0(VALU_DEP_1) | instskip(SKIP_2) | instid1(VALU_DEP_2)
	v_add_f64 v[72:73], v[20:21], v[16:17]
	v_fma_f64 v[20:21], v[32:33], s[58:59], v[247:248]
	v_mul_f64 v[16:17], v[176:177], s[44:45]
	v_add_f64 v[74:75], v[20:21], v[18:19]
	v_fma_f64 v[20:21], v[48:49], s[10:11], v[249:250]
	v_fma_f64 v[18:19], v[34:35], s[24:25], v[62:63]
	s_delay_alu instid0(VALU_DEP_2) | instskip(SKIP_1) | instid1(VALU_DEP_2)
	v_add_f64 v[20:21], v[20:21], v[193:194]
	v_mul_f64 v[193:194], v[172:173], s[16:17]
	v_add_f64 v[20:21], v[189:190], v[20:21]
	v_fma_f64 v[189:190], v[46:47], s[58:59], v[186:187]
	s_delay_alu instid0(VALU_DEP_2) | instskip(NEXT) | instid1(VALU_DEP_2)
	v_add_f64 v[2:3], v[2:3], v[20:21]
	v_add_f64 v[22:23], v[189:190], v[22:23]
	v_fma_f64 v[20:21], v[42:43], s[50:51], v[54:55]
	v_fma_f64 v[189:190], v[50:51], s[56:57], v[193:194]
	s_delay_alu instid0(VALU_DEP_2) | instskip(SKIP_1) | instid1(VALU_DEP_3)
	v_add_f64 v[20:21], v[20:21], v[22:23]
	v_fma_f64 v[22:23], v[26:27], s[8:9], v[56:57]
	v_add_f64 v[189:190], v[189:190], v[199:200]
	v_mul_f64 v[199:200], v[142:143], s[40:41]
	s_delay_alu instid0(VALU_DEP_3) | instskip(SKIP_1) | instid1(VALU_DEP_1)
	v_add_f64 v[2:3], v[22:23], v[2:3]
	v_fma_f64 v[22:23], v[36:37], s[34:35], v[58:59]
	v_add_f64 v[20:21], v[22:23], v[20:21]
	v_fma_f64 v[22:23], v[30:31], s[18:19], v[60:61]
	s_delay_alu instid0(VALU_DEP_1) | instskip(SKIP_1) | instid1(VALU_DEP_2)
	v_add_f64 v[2:3], v[22:23], v[2:3]
	v_mul_f64 v[22:23], v[132:133], s[18:19]
	v_add_f64 v[2:3], v[18:19], v[2:3]
	s_delay_alu instid0(VALU_DEP_2) | instskip(SKIP_1) | instid1(VALU_DEP_2)
	v_fma_f64 v[14:15], v[24:25], s[30:31], v[22:23]
	v_mul_f64 v[18:19], v[100:101], s[14:15]
	v_add_f64 v[14:15], v[14:15], v[20:21]
	v_fma_f64 v[20:21], v[28:29], s[48:49], v[66:67]
	s_delay_alu instid0(VALU_DEP_1) | instskip(SKIP_1) | instid1(VALU_DEP_1)
	v_add_f64 v[14:15], v[20:21], v[14:15]
	v_fma_f64 v[20:21], v[40:41], s[14:15], v[64:65]
	v_add_f64 v[217:218], v[20:21], v[2:3]
	v_fma_f64 v[20:21], v[32:33], s[38:39], v[18:19]
	v_mul_f64 v[2:3], v[126:127], s[8:9]
	s_delay_alu instid0(VALU_DEP_2) | instskip(SKIP_3) | instid1(VALU_DEP_3)
	v_add_f64 v[219:220], v[20:21], v[14:15]
	v_fma_f64 v[20:21], v[48:49], s[16:17], v[16:17]
	v_mul_f64 v[14:15], v[140:141], s[10:11]
	v_fma_f64 v[16:17], v[48:49], s[16:17], -v[16:17]
	v_add_f64 v[20:21], v[20:21], v[197:198]
	v_mul_f64 v[197:198], v[158:159], s[24:25]
	s_delay_alu instid0(VALU_DEP_3) | instskip(SKIP_1) | instid1(VALU_DEP_4)
	v_add_f64 v[16:17], v[16:17], v[201:202]
	v_mul_f64 v[201:202], v[132:133], s[8:9]
	v_add_f64 v[20:21], v[191:192], v[20:21]
	s_delay_alu instid0(VALU_DEP_4) | instskip(NEXT) | instid1(VALU_DEP_1)
	v_fma_f64 v[191:192], v[46:47], s[48:49], v[197:198]
	v_add_f64 v[189:190], v[191:192], v[189:190]
	v_fma_f64 v[191:192], v[38:39], s[10:11], v[199:200]
	s_delay_alu instid0(VALU_DEP_1) | instskip(SKIP_2) | instid1(VALU_DEP_2)
	v_add_f64 v[20:21], v[191:192], v[20:21]
	v_fma_f64 v[191:192], v[42:43], s[36:37], v[14:15]
	v_fma_f64 v[14:15], v[42:43], s[40:41], v[14:15]
	v_add_f64 v[189:190], v[191:192], v[189:190]
	v_fma_f64 v[191:192], v[26:27], s[18:19], v[12:13]
	v_fma_f64 v[12:13], v[26:27], s[18:19], -v[12:13]
	s_delay_alu instid0(VALU_DEP_2) | instskip(SKIP_2) | instid1(VALU_DEP_2)
	v_add_f64 v[20:21], v[191:192], v[20:21]
	v_fma_f64 v[191:192], v[36:37], s[30:31], v[10:11]
	v_fma_f64 v[10:11], v[36:37], s[46:47], v[10:11]
	v_add_f64 v[189:190], v[191:192], v[189:190]
	v_fma_f64 v[191:192], v[30:31], s[22:23], v[8:9]
	v_fma_f64 v[8:9], v[30:31], s[22:23], -v[8:9]
	s_delay_alu instid0(VALU_DEP_2) | instskip(SKIP_2) | instid1(VALU_DEP_2)
	;; [unrolled: 7-line block ×3, first 2 shown]
	v_add_f64 v[20:21], v[191:192], v[20:21]
	v_fma_f64 v[191:192], v[28:29], s[34:35], v[2:3]
	v_fma_f64 v[2:3], v[28:29], s[26:27], v[2:3]
	v_add_f64 v[191:192], v[191:192], v[189:190]
	v_fma_f64 v[189:190], v[40:41], s[20:21], v[0:1]
	v_fma_f64 v[0:1], v[40:41], s[20:21], -v[0:1]
	s_delay_alu instid0(VALU_DEP_2) | instskip(SKIP_1) | instid1(VALU_DEP_1)
	v_add_f64 v[189:190], v[189:190], v[20:21]
	v_mul_f64 v[20:21], v[100:101], s[20:21]
	v_fma_f64 v[94:95], v[32:33], s[54:55], v[20:21]
	s_delay_alu instid0(VALU_DEP_1) | instskip(SKIP_2) | instid1(VALU_DEP_2)
	v_add_f64 v[191:192], v[94:95], v[191:192]
	v_fma_f64 v[94:95], v[50:51], s[44:45], v[193:194]
	v_fma_f64 v[193:194], v[44:45], s[24:25], -v[195:196]
	v_add_f64 v[94:95], v[94:95], v[203:204]
	s_delay_alu instid0(VALU_DEP_2) | instskip(SKIP_2) | instid1(VALU_DEP_2)
	v_add_f64 v[16:17], v[193:194], v[16:17]
	v_fma_f64 v[193:194], v[46:47], s[42:43], v[197:198]
	v_mul_f64 v[203:204], v[130:131], s[52:53]
	v_add_f64 v[94:95], v[193:194], v[94:95]
	v_fma_f64 v[193:194], v[38:39], s[10:11], -v[199:200]
	s_delay_alu instid0(VALU_DEP_2) | instskip(NEXT) | instid1(VALU_DEP_2)
	v_add_f64 v[14:15], v[14:15], v[94:95]
	v_add_f64 v[16:17], v[193:194], v[16:17]
	s_delay_alu instid0(VALU_DEP_2) | instskip(NEXT) | instid1(VALU_DEP_2)
	v_add_f64 v[10:11], v[10:11], v[14:15]
	v_add_f64 v[12:13], v[12:13], v[16:17]
	;; [unrolled: 3-line block ×4, first 2 shown]
	v_fma_f64 v[6:7], v[32:33], s[50:51], v[20:21]
	v_mul_f64 v[8:9], v[170:171], s[30:31]
	s_delay_alu instid0(VALU_DEP_3) | instskip(SKIP_1) | instid1(VALU_DEP_4)
	v_add_f64 v[193:194], v[0:1], v[4:5]
	v_mul_f64 v[0:1], v[176:177], s[50:51]
	v_add_f64 v[195:196], v[6:7], v[2:3]
	v_mul_f64 v[4:5], v[172:173], s[20:21]
	v_fma_f64 v[10:11], v[44:45], s[18:19], v[8:9]
	s_delay_alu instid0(VALU_DEP_4) | instskip(SKIP_1) | instid1(VALU_DEP_4)
	v_fma_f64 v[2:3], v[48:49], s[20:21], v[0:1]
	v_fma_f64 v[0:1], v[48:49], s[20:21], -v[0:1]
	v_fma_f64 v[6:7], v[50:51], s[54:55], v[4:5]
	v_fma_f64 v[4:5], v[50:51], s[50:51], v[4:5]
	s_delay_alu instid0(VALU_DEP_4) | instskip(SKIP_1) | instid1(VALU_DEP_4)
	v_add_f64 v[2:3], v[2:3], v[205:206]
	v_mul_f64 v[205:206], v[126:127], s[22:23]
	v_add_f64 v[6:7], v[6:7], v[207:208]
	v_mul_f64 v[207:208], v[116:117], s[56:57]
	v_add_f64 v[0:1], v[0:1], v[209:210]
	v_add_f64 v[4:5], v[4:5], v[211:212]
	v_mul_f64 v[126:127], v[126:127], s[16:17]
	v_mul_f64 v[116:117], v[116:117], s[46:47]
	v_add_f64 v[2:3], v[10:11], v[2:3]
	v_mul_f64 v[10:11], v[158:159], s[18:19]
	s_delay_alu instid0(VALU_DEP_1) | instskip(NEXT) | instid1(VALU_DEP_1)
	v_fma_f64 v[12:13], v[46:47], s[46:47], v[10:11]
	v_add_f64 v[6:7], v[12:13], v[6:7]
	v_mul_f64 v[12:13], v[142:143], s[38:39]
	s_delay_alu instid0(VALU_DEP_1) | instskip(NEXT) | instid1(VALU_DEP_1)
	v_fma_f64 v[14:15], v[38:39], s[14:15], v[12:13]
	;; [unrolled: 4-line block ×6, first 2 shown]
	v_add_f64 v[2:3], v[197:198], v[2:3]
	v_fma_f64 v[197:198], v[24:25], s[34:35], v[201:202]
	s_delay_alu instid0(VALU_DEP_1) | instskip(SKIP_1) | instid1(VALU_DEP_1)
	v_add_f64 v[6:7], v[197:198], v[6:7]
	v_fma_f64 v[197:198], v[34:35], s[22:23], v[203:204]
	v_add_f64 v[2:3], v[197:198], v[2:3]
	v_fma_f64 v[197:198], v[28:29], s[58:59], v[205:206]
	s_delay_alu instid0(VALU_DEP_1) | instskip(SKIP_1) | instid1(VALU_DEP_1)
	v_add_f64 v[6:7], v[197:198], v[6:7]
	v_fma_f64 v[197:198], v[40:41], s[16:17], v[207:208]
	v_add_f64 v[197:198], v[197:198], v[2:3]
	v_mul_f64 v[2:3], v[100:101], s[16:17]
	v_mul_f64 v[100:101], v[100:101], s[18:19]
	s_delay_alu instid0(VALU_DEP_2) | instskip(SKIP_1) | instid1(VALU_DEP_2)
	v_fma_f64 v[199:200], v[32:33], s[44:45], v[2:3]
	v_fma_f64 v[2:3], v[32:33], s[56:57], v[2:3]
	v_add_f64 v[199:200], v[199:200], v[6:7]
	v_fma_f64 v[6:7], v[44:45], s[18:19], -v[8:9]
	v_mul_f64 v[8:9], v[170:171], s[40:41]
	s_delay_alu instid0(VALU_DEP_2) | instskip(SKIP_1) | instid1(VALU_DEP_3)
	v_add_f64 v[0:1], v[6:7], v[0:1]
	v_fma_f64 v[6:7], v[46:47], s[30:31], v[10:11]
	v_fma_f64 v[10:11], v[44:45], s[10:11], v[8:9]
	s_delay_alu instid0(VALU_DEP_2) | instskip(SKIP_1) | instid1(VALU_DEP_1)
	v_add_f64 v[4:5], v[6:7], v[4:5]
	v_fma_f64 v[6:7], v[38:39], s[14:15], -v[12:13]
	v_add_f64 v[0:1], v[6:7], v[0:1]
	v_fma_f64 v[6:7], v[42:43], s[38:39], v[14:15]
	s_delay_alu instid0(VALU_DEP_1) | instskip(SKIP_1) | instid1(VALU_DEP_1)
	v_add_f64 v[4:5], v[6:7], v[4:5]
	v_fma_f64 v[6:7], v[26:27], s[24:25], -v[16:17]
	v_add_f64 v[0:1], v[6:7], v[0:1]
	v_fma_f64 v[6:7], v[36:37], s[42:43], v[20:21]
	s_delay_alu instid0(VALU_DEP_1) | instskip(SKIP_1) | instid1(VALU_DEP_1)
	;; [unrolled: 5-line block ×3, first 2 shown]
	v_add_f64 v[4:5], v[6:7], v[4:5]
	v_fma_f64 v[6:7], v[34:35], s[22:23], -v[203:204]
	v_add_f64 v[0:1], v[6:7], v[0:1]
	v_fma_f64 v[6:7], v[28:29], s[52:53], v[205:206]
	s_delay_alu instid0(VALU_DEP_1) | instskip(SKIP_1) | instid1(VALU_DEP_2)
	v_add_f64 v[4:5], v[6:7], v[4:5]
	v_fma_f64 v[6:7], v[40:41], s[16:17], -v[207:208]
	v_add_f64 v[203:204], v[2:3], v[4:5]
	s_delay_alu instid0(VALU_DEP_2) | instskip(SKIP_2) | instid1(VALU_DEP_2)
	v_add_f64 v[201:202], v[6:7], v[0:1]
	v_mul_f64 v[0:1], v[176:177], s[48:49]
	v_mul_f64 v[4:5], v[172:173], s[24:25]
	v_fma_f64 v[2:3], v[48:49], s[24:25], v[0:1]
	s_delay_alu instid0(VALU_DEP_2) | instskip(SKIP_1) | instid1(VALU_DEP_3)
	v_fma_f64 v[6:7], v[50:51], s[42:43], v[4:5]
	v_fma_f64 v[0:1], v[48:49], s[24:25], -v[0:1]
	v_add_f64 v[2:3], v[2:3], v[213:214]
	s_delay_alu instid0(VALU_DEP_3) | instskip(NEXT) | instid1(VALU_DEP_3)
	v_add_f64 v[6:7], v[6:7], v[215:216]
	v_add_f64 v[0:1], v[0:1], v[92:93]
	s_delay_alu instid0(VALU_DEP_3) | instskip(SKIP_1) | instid1(VALU_DEP_1)
	v_add_f64 v[2:3], v[10:11], v[2:3]
	v_mul_f64 v[10:11], v[158:159], s[10:11]
	v_fma_f64 v[12:13], v[46:47], s[36:37], v[10:11]
	s_delay_alu instid0(VALU_DEP_1) | instskip(SKIP_1) | instid1(VALU_DEP_1)
	v_add_f64 v[6:7], v[12:13], v[6:7]
	v_mul_f64 v[12:13], v[142:143], s[52:53]
	v_fma_f64 v[14:15], v[38:39], s[22:23], v[12:13]
	s_delay_alu instid0(VALU_DEP_1) | instskip(SKIP_1) | instid1(VALU_DEP_1)
	;; [unrolled: 4-line block ×3, first 2 shown]
	v_add_f64 v[6:7], v[16:17], v[6:7]
	v_mul_f64 v[16:17], v[138:139], s[28:29]
	v_fma_f64 v[20:21], v[26:27], s[14:15], v[16:17]
	s_delay_alu instid0(VALU_DEP_1) | instskip(SKIP_2) | instid1(VALU_DEP_2)
	v_add_f64 v[2:3], v[20:21], v[2:3]
	v_mul_f64 v[20:21], v[136:137], s[14:15]
	v_mul_f64 v[136:137], v[130:131], s[56:57]
	v_fma_f64 v[94:95], v[36:37], s[38:39], v[20:21]
	s_delay_alu instid0(VALU_DEP_2) | instskip(NEXT) | instid1(VALU_DEP_2)
	v_fma_f64 v[130:131], v[34:35], s[16:17], v[136:137]
	v_add_f64 v[6:7], v[94:95], v[6:7]
	v_mul_f64 v[94:95], v[134:135], s[50:51]
	s_delay_alu instid0(VALU_DEP_1) | instskip(NEXT) | instid1(VALU_DEP_1)
	v_fma_f64 v[134:135], v[30:31], s[20:21], v[94:95]
	v_add_f64 v[2:3], v[134:135], v[2:3]
	v_mul_f64 v[134:135], v[132:133], s[20:21]
	s_delay_alu instid0(VALU_DEP_2) | instskip(NEXT) | instid1(VALU_DEP_2)
	v_add_f64 v[2:3], v[130:131], v[2:3]
	v_fma_f64 v[132:133], v[24:25], s[54:55], v[134:135]
	v_fma_f64 v[130:131], v[28:29], s[44:45], v[126:127]
	s_delay_alu instid0(VALU_DEP_2) | instskip(NEXT) | instid1(VALU_DEP_1)
	v_add_f64 v[6:7], v[132:133], v[6:7]
	v_add_f64 v[6:7], v[130:131], v[6:7]
	v_fma_f64 v[130:131], v[40:41], s[18:19], v[116:117]
	s_delay_alu instid0(VALU_DEP_1) | instskip(SKIP_1) | instid1(VALU_DEP_1)
	v_add_f64 v[130:131], v[130:131], v[2:3]
	v_fma_f64 v[2:3], v[32:33], s[30:31], v[100:101]
	v_add_f64 v[132:133], v[2:3], v[6:7]
	v_fma_f64 v[2:3], v[50:51], s[48:49], v[4:5]
	scratch_load_b64 v[4:5], off, off offset:176 ; 8-byte Folded Reload
	v_fma_f64 v[6:7], v[32:33], s[46:47], v[100:101]
	s_waitcnt vmcnt(0)
	v_add_f64 v[2:3], v[2:3], v[4:5]
	v_fma_f64 v[4:5], v[44:45], s[10:11], -v[8:9]
	s_delay_alu instid0(VALU_DEP_1) | instskip(SKIP_1) | instid1(VALU_DEP_1)
	v_add_f64 v[0:1], v[4:5], v[0:1]
	v_fma_f64 v[4:5], v[46:47], s[40:41], v[10:11]
	v_add_f64 v[2:3], v[4:5], v[2:3]
	v_fma_f64 v[4:5], v[38:39], s[22:23], -v[12:13]
	s_delay_alu instid0(VALU_DEP_1) | instskip(SKIP_1) | instid1(VALU_DEP_1)
	v_add_f64 v[0:1], v[4:5], v[0:1]
	v_fma_f64 v[4:5], v[42:43], s[52:53], v[14:15]
	v_add_f64 v[2:3], v[4:5], v[2:3]
	v_fma_f64 v[4:5], v[26:27], s[14:15], -v[16:17]
	v_lshlrev_b32_e32 v16, 8, v188
	s_delay_alu instid0(VALU_DEP_2) | instskip(SKIP_1) | instid1(VALU_DEP_1)
	v_add_f64 v[0:1], v[4:5], v[0:1]
	v_fma_f64 v[4:5], v[36:37], s[28:29], v[20:21]
	v_add_f64 v[2:3], v[4:5], v[2:3]
	v_fma_f64 v[4:5], v[30:31], s[20:21], -v[94:95]
	s_delay_alu instid0(VALU_DEP_1) | instskip(SKIP_1) | instid1(VALU_DEP_1)
	v_add_f64 v[0:1], v[4:5], v[0:1]
	v_fma_f64 v[4:5], v[24:25], s[50:51], v[134:135]
	v_add_f64 v[2:3], v[4:5], v[2:3]
	v_fma_f64 v[4:5], v[34:35], s[16:17], -v[136:137]
	s_delay_alu instid0(VALU_DEP_1) | instskip(SKIP_1) | instid1(VALU_DEP_1)
	v_add_f64 v[0:1], v[4:5], v[0:1]
	v_fma_f64 v[4:5], v[28:29], s[56:57], v[126:127]
	v_add_f64 v[2:3], v[4:5], v[2:3]
	v_fma_f64 v[4:5], v[40:41], s[18:19], -v[116:117]
	s_delay_alu instid0(VALU_DEP_2)
	v_add_f64 v[136:137], v[6:7], v[2:3]
	scratch_load_b64 v[2:3], off, off offset:168 ; 8-byte Folded Reload
	v_add_f64 v[134:135], v[4:5], v[0:1]
	scratch_load_b64 v[4:5], off, off offset:160 ; 8-byte Folded Reload
	v_fma_f64 v[0:1], v[48:49], s[10:11], -v[249:250]
	v_fma_f64 v[6:7], v[32:33], s[28:29], v[18:19]
	s_waitcnt vmcnt(1)
	s_delay_alu instid0(VALU_DEP_2) | instskip(SKIP_2) | instid1(VALU_DEP_1)
	v_add_f64 v[0:1], v[0:1], v[2:3]
	v_fma_f64 v[2:3], v[50:51], s[36:37], v[251:252]
	s_waitcnt vmcnt(0)
	v_add_f64 v[2:3], v[2:3], v[4:5]
	v_fma_f64 v[4:5], v[44:45], s[22:23], -v[253:254]
	s_delay_alu instid0(VALU_DEP_1) | instskip(SKIP_1) | instid1(VALU_DEP_1)
	v_add_f64 v[0:1], v[4:5], v[0:1]
	v_fma_f64 v[4:5], v[46:47], s[52:53], v[186:187]
	v_add_f64 v[2:3], v[4:5], v[2:3]
	v_fma_f64 v[4:5], v[38:39], s[20:21], -v[52:53]
	s_delay_alu instid0(VALU_DEP_1) | instskip(SKIP_1) | instid1(VALU_DEP_1)
	v_add_f64 v[0:1], v[4:5], v[0:1]
	v_fma_f64 v[4:5], v[42:43], s[54:55], v[54:55]
	v_add_f64 v[2:3], v[4:5], v[2:3]
	v_fma_f64 v[4:5], v[26:27], s[8:9], -v[56:57]
	s_delay_alu instid0(VALU_DEP_1) | instskip(SKIP_1) | instid1(VALU_DEP_1)
	v_add_f64 v[0:1], v[4:5], v[0:1]
	v_fma_f64 v[4:5], v[36:37], s[26:27], v[58:59]
	v_add_f64 v[2:3], v[4:5], v[2:3]
	v_fma_f64 v[4:5], v[30:31], s[18:19], -v[60:61]
	s_delay_alu instid0(VALU_DEP_1) | instskip(SKIP_1) | instid1(VALU_DEP_1)
	v_add_f64 v[0:1], v[4:5], v[0:1]
	v_fma_f64 v[4:5], v[24:25], s[46:47], v[22:23]
	v_add_f64 v[2:3], v[4:5], v[2:3]
	v_fma_f64 v[4:5], v[34:35], s[24:25], -v[62:63]
	s_delay_alu instid0(VALU_DEP_1) | instskip(SKIP_1) | instid1(VALU_DEP_1)
	v_add_f64 v[0:1], v[4:5], v[0:1]
	v_fma_f64 v[4:5], v[28:29], s[42:43], v[66:67]
	v_add_f64 v[2:3], v[4:5], v[2:3]
	v_fma_f64 v[4:5], v[40:41], s[14:15], -v[64:65]
	s_delay_alu instid0(VALU_DEP_2)
	v_add_f64 v[140:141], v[6:7], v[2:3]
	scratch_load_b64 v[2:3], off, off offset:152 ; 8-byte Folded Reload
	v_add_f64 v[138:139], v[4:5], v[0:1]
	scratch_load_b64 v[4:5], off, off offset:144 ; 8-byte Folded Reload
	v_fma_f64 v[0:1], v[48:49], s[8:9], -v[221:222]
	v_fma_f64 v[6:7], v[32:33], s[52:53], v[247:248]
	s_waitcnt vmcnt(1)
	s_delay_alu instid0(VALU_DEP_2) | instskip(SKIP_2) | instid1(VALU_DEP_1)
	v_add_f64 v[0:1], v[0:1], v[2:3]
	v_fma_f64 v[2:3], v[50:51], s[26:27], v[223:224]
	s_waitcnt vmcnt(0)
	v_add_f64 v[2:3], v[2:3], v[4:5]
	v_fma_f64 v[4:5], v[44:45], s[16:17], -v[225:226]
	s_delay_alu instid0(VALU_DEP_1) | instskip(SKIP_1) | instid1(VALU_DEP_1)
	v_add_f64 v[0:1], v[4:5], v[0:1]
	v_fma_f64 v[4:5], v[46:47], s[44:45], v[227:228]
	v_add_f64 v[2:3], v[4:5], v[2:3]
	v_fma_f64 v[4:5], v[38:39], s[24:25], -v[229:230]
	s_delay_alu instid0(VALU_DEP_1) | instskip(SKIP_1) | instid1(VALU_DEP_1)
	v_add_f64 v[0:1], v[4:5], v[0:1]
	v_fma_f64 v[4:5], v[42:43], s[48:49], v[231:232]
	v_add_f64 v[2:3], v[4:5], v[2:3]
	v_fma_f64 v[4:5], v[26:27], s[20:21], -v[233:234]
	s_delay_alu instid0(VALU_DEP_1) | instskip(SKIP_1) | instid1(VALU_DEP_1)
	;; [unrolled: 39-line block ×4, first 2 shown]
	v_add_f64 v[0:1], v[4:5], v[0:1]
	v_fma_f64 v[4:5], v[36:37], s[36:37], v[112:113]
	v_add_f64 v[2:3], v[4:5], v[2:3]
	v_fma_f64 v[4:5], v[30:31], s[16:17], -v[114:115]
	s_delay_alu instid0(VALU_DEP_1) | instskip(SKIP_1) | instid1(VALU_DEP_1)
	v_add_f64 v[0:1], v[4:5], v[0:1]
	v_fma_f64 v[4:5], v[24:25], s[44:45], v[118:119]
	v_add_f64 v[2:3], v[4:5], v[2:3]
	v_fma_f64 v[4:5], v[34:35], s[20:21], -v[120:121]
	s_delay_alu instid0(VALU_DEP_1) | instskip(SKIP_1) | instid1(VALU_DEP_1)
	v_add_f64 v[0:1], v[4:5], v[0:1]
	v_fma_f64 v[4:5], v[28:29], s[50:51], v[122:123]
	v_add_f64 v[2:3], v[4:5], v[2:3]
	v_fma_f64 v[4:5], v[40:41], s[24:25], -v[124:125]
	s_delay_alu instid0(VALU_DEP_2) | instskip(NEXT) | instid1(VALU_DEP_2)
	v_add_f64 v[98:99], v[6:7], v[2:3]
	v_add_f64 v[96:97], v[4:5], v[0:1]
	s_clause 0x3
	scratch_load_b64 v[0:1], off, off offset:48
	scratch_load_b64 v[6:7], off, off offset:72
	;; [unrolled: 1-line block ×4, first 2 shown]
	s_waitcnt vmcnt(3)
	v_fma_f64 v[0:1], v[48:49], s[22:23], -v[0:1]
	s_waitcnt vmcnt(2)
	v_fma_f64 v[6:7], v[46:47], s[54:55], v[6:7]
	s_waitcnt vmcnt(1)
	s_delay_alu instid0(VALU_DEP_2) | instskip(SKIP_4) | instid1(VALU_DEP_1)
	v_add_f64 v[0:1], v[0:1], v[4:5]
	scratch_load_b64 v[4:5], off, off offset:24 ; 8-byte Folded Reload
	s_waitcnt vmcnt(1)
	v_fma_f64 v[2:3], v[50:51], s[58:59], v[2:3]
	s_waitcnt vmcnt(0)
	v_add_f64 v[2:3], v[2:3], v[4:5]
	scratch_load_b64 v[4:5], off, off offset:64 ; 8-byte Folded Reload
	v_add_f64 v[2:3], v[6:7], v[2:3]
	scratch_load_b64 v[6:7], off, off offset:88 ; 8-byte Folded Reload
	s_waitcnt vmcnt(1)
	v_fma_f64 v[4:5], v[44:45], s[20:21], -v[4:5]
	s_delay_alu instid0(VALU_DEP_1) | instskip(SKIP_3) | instid1(VALU_DEP_1)
	v_add_f64 v[0:1], v[4:5], v[0:1]
	scratch_load_b64 v[4:5], off, off offset:80 ; 8-byte Folded Reload
	s_waitcnt vmcnt(1)
	v_fma_f64 v[6:7], v[42:43], s[30:31], v[6:7]
	v_add_f64 v[2:3], v[6:7], v[2:3]
	scratch_load_b64 v[6:7], off, off offset:104 ; 8-byte Folded Reload
	s_waitcnt vmcnt(1)
	v_fma_f64 v[4:5], v[38:39], s[18:19], -v[4:5]
	s_delay_alu instid0(VALU_DEP_1) | instskip(SKIP_3) | instid1(VALU_DEP_1)
	v_add_f64 v[0:1], v[4:5], v[0:1]
	scratch_load_b64 v[4:5], off, off offset:96 ; 8-byte Folded Reload
	s_waitcnt vmcnt(1)
	v_fma_f64 v[6:7], v[36:37], s[56:57], v[6:7]
	v_add_f64 v[2:3], v[6:7], v[2:3]
	v_fma_f64 v[6:7], v[24:25], s[28:29], v[184:185]
	s_delay_alu instid0(VALU_DEP_1) | instskip(SKIP_1) | instid1(VALU_DEP_1)
	v_add_f64 v[2:3], v[6:7], v[2:3]
	v_fma_f64 v[6:7], v[28:29], s[40:41], v[90:91]
	v_add_f64 v[2:3], v[6:7], v[2:3]
	v_fma_f64 v[6:7], v[32:33], s[26:27], v[86:87]
	s_waitcnt vmcnt(0)
	v_fma_f64 v[4:5], v[26:27], s[16:17], -v[4:5]
	s_delay_alu instid0(VALU_DEP_2) | instskip(NEXT) | instid1(VALU_DEP_2)
	v_add_f64 v[26:27], v[6:7], v[2:3]
	v_add_f64 v[0:1], v[4:5], v[0:1]
	scratch_load_b64 v[4:5], off, off offset:112 ; 8-byte Folded Reload
	s_waitcnt vmcnt(0)
	v_fma_f64 v[4:5], v[30:31], s[14:15], -v[4:5]
	s_delay_alu instid0(VALU_DEP_1) | instskip(SKIP_3) | instid1(VALU_DEP_1)
	v_add_f64 v[0:1], v[4:5], v[0:1]
	scratch_load_b64 v[4:5], off, off offset:120 ; 8-byte Folded Reload
	s_waitcnt vmcnt(0)
	v_fma_f64 v[4:5], v[34:35], s[10:11], -v[4:5]
	v_add_f64 v[0:1], v[4:5], v[0:1]
	v_fma_f64 v[4:5], v[40:41], s[8:9], -v[84:85]
	s_delay_alu instid0(VALU_DEP_1)
	v_add_f64 v[24:25], v[4:5], v[0:1]
	scratch_load_b32 v0, off, off offset:8  ; 4-byte Folded Reload
	s_waitcnt vmcnt(0)
	s_waitcnt_vscnt null, 0x0
	s_barrier
	buffer_gl0_inv
	v_mad_u32_u24 v0, 0x110, v188, v0
	ds_store_b128 v0, v[180:183]
	ds_store_b128 v0, v[80:83] offset:16
	ds_store_b128 v0, v[150:153] offset:32
	;; [unrolled: 1-line block ×16, first 2 shown]
	s_waitcnt lgkmcnt(0)
	s_barrier
	buffer_gl0_inv
	s_clause 0x5
	global_load_b128 v[12:15], v16, s[12:13]
	global_load_b128 v[8:11], v16, s[12:13] offset:16
	global_load_b128 v[4:7], v16, s[12:13] offset:32
	;; [unrolled: 1-line block ×5, first 2 shown]
	ds_load_b128 v[25:28], v89 offset:272
	ds_load_b128 v[84:87], v255
	ds_load_b128 v[29:32], v89 offset:544
	s_waitcnt vmcnt(5) lgkmcnt(2)
	v_mul_f64 v[33:34], v[27:28], v[14:15]
	v_mul_f64 v[14:15], v[25:26], v[14:15]
	s_delay_alu instid0(VALU_DEP_2) | instskip(NEXT) | instid1(VALU_DEP_2)
	v_fma_f64 v[25:26], v[25:26], v[12:13], v[33:34]
	v_fma_f64 v[27:28], v[27:28], v[12:13], -v[14:15]
	ds_load_b128 v[12:15], v89 offset:816
	s_waitcnt vmcnt(4) lgkmcnt(1)
	v_mul_f64 v[33:34], v[31:32], v[10:11]
	v_mul_f64 v[10:11], v[29:30], v[10:11]
	s_waitcnt vmcnt(3) lgkmcnt(0)
	v_mul_f64 v[35:36], v[14:15], v[6:7]
	s_delay_alu instid0(VALU_DEP_3) | instskip(NEXT) | instid1(VALU_DEP_3)
	v_fma_f64 v[33:34], v[29:30], v[8:9], v[33:34]
	v_fma_f64 v[31:32], v[31:32], v[8:9], -v[10:11]
	v_mul_f64 v[10:11], v[12:13], v[6:7]
	ds_load_b128 v[6:9], v89 offset:1088
	v_fma_f64 v[35:36], v[12:13], v[4:5], v[35:36]
	v_fma_f64 v[37:38], v[14:15], v[4:5], -v[10:11]
	ds_load_b128 v[10:13], v89 offset:1360
	s_waitcnt vmcnt(2) lgkmcnt(1)
	v_mul_f64 v[4:5], v[8:9], v[2:3]
	v_mul_f64 v[2:3], v[6:7], v[2:3]
	s_waitcnt vmcnt(1) lgkmcnt(0)
	v_mul_f64 v[14:15], v[12:13], v[19:20]
	s_delay_alu instid0(VALU_DEP_3) | instskip(SKIP_1) | instid1(VALU_DEP_4)
	v_fma_f64 v[39:40], v[6:7], v[0:1], v[4:5]
	v_mul_f64 v[4:5], v[10:11], v[19:20]
	v_fma_f64 v[41:42], v[8:9], v[0:1], -v[2:3]
	ds_load_b128 v[0:3], v89 offset:1632
	v_fma_f64 v[43:44], v[10:11], v[17:18], v[14:15]
	v_fma_f64 v[45:46], v[12:13], v[17:18], -v[4:5]
	ds_load_b128 v[4:7], v89 offset:1904
	s_waitcnt vmcnt(0) lgkmcnt(1)
	v_mul_f64 v[8:9], v[2:3], v[23:24]
	v_mul_f64 v[10:11], v[0:1], v[23:24]
	s_delay_alu instid0(VALU_DEP_2) | instskip(NEXT) | instid1(VALU_DEP_2)
	v_fma_f64 v[47:48], v[0:1], v[21:22], v[8:9]
	v_fma_f64 v[49:50], v[2:3], v[21:22], -v[10:11]
	s_clause 0x1
	global_load_b128 v[0:3], v16, s[12:13] offset:96
	global_load_b128 v[8:11], v16, s[12:13] offset:112
	s_waitcnt vmcnt(1) lgkmcnt(0)
	v_mul_f64 v[12:13], v[6:7], v[2:3]
	v_mul_f64 v[2:3], v[4:5], v[2:3]
	s_delay_alu instid0(VALU_DEP_2) | instskip(NEXT) | instid1(VALU_DEP_2)
	v_fma_f64 v[51:52], v[4:5], v[0:1], v[12:13]
	v_fma_f64 v[53:54], v[6:7], v[0:1], -v[2:3]
	ds_load_b128 v[0:3], v89 offset:2176
	ds_load_b128 v[4:7], v89 offset:2448
	s_waitcnt vmcnt(0) lgkmcnt(1)
	v_mul_f64 v[12:13], v[2:3], v[10:11]
	s_delay_alu instid0(VALU_DEP_1) | instskip(SKIP_1) | instid1(VALU_DEP_1)
	v_fma_f64 v[58:59], v[0:1], v[8:9], v[12:13]
	v_mul_f64 v[0:1], v[0:1], v[10:11]
	v_fma_f64 v[60:61], v[2:3], v[8:9], -v[0:1]
	s_clause 0x1
	global_load_b128 v[0:3], v16, s[12:13] offset:128
	global_load_b128 v[8:11], v16, s[12:13] offset:144
	s_waitcnt vmcnt(1) lgkmcnt(0)
	v_mul_f64 v[12:13], v[6:7], v[2:3]
	v_mul_f64 v[2:3], v[4:5], v[2:3]
	s_delay_alu instid0(VALU_DEP_2) | instskip(NEXT) | instid1(VALU_DEP_2)
	v_fma_f64 v[62:63], v[4:5], v[0:1], v[12:13]
	v_fma_f64 v[64:65], v[6:7], v[0:1], -v[2:3]
	ds_load_b128 v[0:3], v89 offset:2720
	ds_load_b128 v[4:7], v89 offset:2992
	s_waitcnt vmcnt(0) lgkmcnt(1)
	v_mul_f64 v[12:13], v[2:3], v[10:11]
	s_delay_alu instid0(VALU_DEP_1) | instskip(SKIP_1) | instid1(VALU_DEP_2)
	v_fma_f64 v[66:67], v[0:1], v[8:9], v[12:13]
	v_mul_f64 v[0:1], v[0:1], v[10:11]
	v_add_f64 v[176:177], v[51:52], v[66:67]
	s_delay_alu instid0(VALU_DEP_2)
	v_fma_f64 v[160:161], v[2:3], v[8:9], -v[0:1]
	s_clause 0x1
	global_load_b128 v[0:3], v16, s[12:13] offset:160
	global_load_b128 v[8:11], v16, s[12:13] offset:176
	v_add_f64 v[180:181], v[51:52], -v[66:67]
	s_waitcnt vmcnt(1) lgkmcnt(0)
	v_mul_f64 v[12:13], v[6:7], v[2:3]
	v_mul_f64 v[2:3], v[4:5], v[2:3]
	s_delay_alu instid0(VALU_DEP_2) | instskip(NEXT) | instid1(VALU_DEP_2)
	v_fma_f64 v[56:57], v[4:5], v[0:1], v[12:13]
	v_fma_f64 v[90:91], v[6:7], v[0:1], -v[2:3]
	s_clause 0x1
	global_load_b128 v[0:3], v16, s[12:13] offset:240
	global_load_b128 v[12:15], v16, s[12:13] offset:224
	ds_load_b128 v[4:7], v89 offset:4352
	v_add_f64 v[158:159], v[47:48], -v[56:57]
	v_add_f64 v[228:229], v[49:50], -v[90:91]
	v_add_f64 v[230:231], v[49:50], v[90:91]
	s_delay_alu instid0(VALU_DEP_2) | instskip(NEXT) | instid1(VALU_DEP_2)
	v_mul_f64 v[154:155], v[228:229], s[28:29]
	v_mul_f64 v[162:163], v[230:231], s[14:15]
	;; [unrolled: 1-line block ×6, first 2 shown]
	s_waitcnt vmcnt(1) lgkmcnt(0)
	v_mul_f64 v[17:18], v[4:5], v[2:3]
	v_mul_f64 v[2:3], v[6:7], v[2:3]
	s_delay_alu instid0(VALU_DEP_2) | instskip(NEXT) | instid1(VALU_DEP_2)
	v_fma_f64 v[92:93], v[6:7], v[0:1], -v[17:18]
	v_fma_f64 v[98:99], v[4:5], v[0:1], v[2:3]
	ds_load_b128 v[0:3], v89 offset:3264
	ds_load_b128 v[4:7], v89 offset:3536
	s_waitcnt lgkmcnt(1)
	v_mul_f64 v[17:18], v[2:3], v[10:11]
	v_add_f64 v[116:117], v[25:26], -v[98:99]
	s_delay_alu instid0(VALU_DEP_2) | instskip(SKIP_1) | instid1(VALU_DEP_1)
	v_fma_f64 v[68:69], v[0:1], v[8:9], v[17:18]
	v_mul_f64 v[0:1], v[0:1], v[10:11]
	v_fma_f64 v[70:71], v[2:3], v[8:9], -v[0:1]
	s_clause 0x1
	global_load_b128 v[0:3], v16, s[12:13] offset:192
	global_load_b128 v[8:11], v16, s[12:13] offset:208
	v_add_f64 v[196:197], v[45:46], -v[70:71]
	v_add_f64 v[198:199], v[45:46], v[70:71]
	s_delay_alu instid0(VALU_DEP_2) | instskip(NEXT) | instid1(VALU_DEP_2)
	v_mul_f64 v[212:213], v[196:197], s[36:37]
	v_mul_f64 v[214:215], v[198:199], s[10:11]
	;; [unrolled: 1-line block ×4, first 2 shown]
	s_waitcnt vmcnt(1) lgkmcnt(0)
	v_mul_f64 v[16:17], v[6:7], v[2:3]
	v_mul_f64 v[2:3], v[4:5], v[2:3]
	s_delay_alu instid0(VALU_DEP_2) | instskip(NEXT) | instid1(VALU_DEP_2)
	v_fma_f64 v[72:73], v[4:5], v[0:1], v[16:17]
	v_fma_f64 v[74:75], v[6:7], v[0:1], -v[2:3]
	ds_load_b128 v[0:3], v89 offset:3808
	ds_load_b128 v[4:7], v89 offset:4080
	s_waitcnt vmcnt(0) lgkmcnt(1)
	v_mul_f64 v[16:17], v[2:3], v[10:11]
	v_add_f64 v[184:185], v[41:42], -v[74:75]
	v_add_f64 v[186:187], v[41:42], v[74:75]
	s_delay_alu instid0(VALU_DEP_3)
	v_fma_f64 v[76:77], v[0:1], v[8:9], v[16:17]
	v_mul_f64 v[0:1], v[0:1], v[10:11]
	v_add_f64 v[16:17], v[25:26], v[98:99]
	v_mul_f64 v[208:209], v[184:185], s[26:27]
	v_mul_f64 v[210:211], v[186:187], s[8:9]
	;; [unrolled: 1-line block ×4, first 2 shown]
	v_fma_f64 v[78:79], v[2:3], v[8:9], -v[0:1]
	s_waitcnt lgkmcnt(0)
	v_mul_f64 v[0:1], v[6:7], v[14:15]
	s_delay_alu instid0(VALU_DEP_2) | instskip(NEXT) | instid1(VALU_DEP_2)
	v_add_f64 v[164:165], v[37:38], -v[78:79]
	v_fma_f64 v[80:81], v[4:5], v[12:13], v[0:1]
	v_mul_f64 v[0:1], v[4:5], v[14:15]
	v_add_f64 v[166:167], v[37:38], v[78:79]
	s_delay_alu instid0(VALU_DEP_4) | instskip(SKIP_1) | instid1(VALU_DEP_4)
	v_mul_f64 v[156:157], v[164:165], s[28:29]
	v_mul_f64 v[236:237], v[164:165], s[34:35]
	v_fma_f64 v[82:83], v[6:7], v[12:13], -v[0:1]
	v_add_f64 v[0:1], v[27:28], -v[92:93]
	v_mul_f64 v[206:207], v[166:167], s[14:15]
	v_mul_f64 v[238:239], v[166:167], s[8:9]
	s_delay_alu instid0(VALU_DEP_3)
	v_mul_f64 v[4:5], v[0:1], s[58:59]
	v_mul_f64 v[6:7], v[0:1], s[54:55]
	;; [unrolled: 1-line block ×8, first 2 shown]
	v_fma_f64 v[20:21], v[16:17], s[22:23], v[4:5]
	v_fma_f64 v[22:23], v[16:17], s[22:23], -v[4:5]
	v_add_f64 v[4:5], v[27:28], v[92:93]
	v_fma_f64 v[29:30], v[16:17], s[20:21], v[6:7]
	v_fma_f64 v[96:97], v[16:17], s[20:21], -v[6:7]
	v_fma_f64 v[18:19], v[16:17], s[24:25], v[2:3]
	v_fma_f64 v[2:3], v[16:17], s[24:25], -v[2:3]
	;; [unrolled: 2-line block ×7, first 2 shown]
	v_mul_f64 v[6:7], v[4:5], s[24:25]
	v_mul_f64 v[8:9], v[4:5], s[22:23]
	v_mul_f64 v[10:11], v[4:5], s[20:21]
	v_mul_f64 v[12:13], v[4:5], s[18:19]
	v_mul_f64 v[14:15], v[4:5], s[16:17]
	v_mul_f64 v[16:17], v[4:5], s[14:15]
	v_mul_f64 v[106:107], v[4:5], s[10:11]
	v_mul_f64 v[4:5], v[4:5], s[8:9]
	v_add_f64 v[2:3], v[84:85], v[2:3]
	v_add_f64 v[174:175], v[84:85], v[110:111]
	v_add_f64 v[170:171], v[84:85], v[112:113]
	v_add_f64 v[112:113], v[35:36], -v[76:77]
	v_dual_mov_b32 v111, v59 :: v_dual_mov_b32 v110, v58
	v_add_f64 v[0:1], v[84:85], v[0:1]
	s_delay_alu instid0(VALU_DEP_2)
	v_add_f64 v[188:189], v[110:111], v[62:63]
	v_add_f64 v[192:193], v[110:111], -v[62:63]
	v_fma_f64 v[118:119], v[116:117], s[48:49], v[6:7]
	v_fma_f64 v[6:7], v[116:117], s[42:43], v[6:7]
	;; [unrolled: 1-line block ×9, first 2 shown]
	v_add_f64 v[4:5], v[84:85], v[25:26]
	scratch_store_b64 off, v[92:93], off offset:8 ; 8-byte Folded Spill
	v_add_f64 v[12:13], v[84:85], v[102:103]
	v_fma_f64 v[140:141], v[116:117], s[28:29], v[16:17]
	v_fma_f64 v[142:143], v[116:117], s[36:37], v[106:107]
	;; [unrolled: 1-line block ×3, first 2 shown]
	scratch_store_b64 off, v[0:1], off offset:184 ; 8-byte Folded Spill
	v_fma_f64 v[134:135], v[116:117], s[44:45], v[14:15]
	v_fma_f64 v[136:137], v[116:117], s[56:57], v[14:15]
	v_add_f64 v[14:15], v[84:85], v[100:101]
	v_add_f64 v[100:101], v[33:34], -v[80:81]
	v_add_f64 v[102:103], v[84:85], v[108:109]
	v_add_f64 v[108:109], v[35:36], v[76:77]
	v_fma_f64 v[126:127], v[116:117], s[50:51], v[10:11]
	v_fma_f64 v[138:139], v[116:117], s[38:39], v[16:17]
	v_add_f64 v[10:11], v[84:85], v[29:30]
	v_add_f64 v[24:25], v[86:87], v[6:7]
	;; [unrolled: 1-line block ×4, first 2 shown]
	v_add_f64 v[124:125], v[39:40], -v[72:73]
	v_add_f64 v[22:23], v[84:85], v[104:105]
	v_add_f64 v[0:1], v[86:87], v[152:153]
	;; [unrolled: 1-line block ×3, first 2 shown]
	scratch_store_b64 off, v[12:13], off offset:152 ; 8-byte Folded Spill
	v_add_f64 v[12:13], v[86:87], v[132:133]
	v_add_f64 v[132:133], v[43:44], v[68:69]
	v_add_f64 v[116:117], v[86:87], v[136:137]
	v_add_f64 v[136:137], v[43:44], -v[68:69]
	v_add_f64 v[172:173], v[86:87], v[138:139]
	v_mul_f64 v[138:139], v[198:199], s[16:17]
	scratch_store_b64 off, v[6:7], off offset:72 ; 8-byte Folded Spill
	v_add_f64 v[6:7], v[86:87], v[8:9]
	scratch_store_b64 off, v[4:5], off offset:16 ; 8-byte Folded Spill
	v_add_f64 v[4:5], v[86:87], v[27:28]
	v_add_f64 v[8:9], v[86:87], v[126:127]
	v_mul_f64 v[126:127], v[186:187], s[18:19]
	scratch_store_b64 off, v[12:13], off offset:144 ; 8-byte Folded Spill
	v_add_f64 v[12:13], v[86:87], v[140:141]
	scratch_store_b64 off, v[6:7], off offset:64 ; 8-byte Folded Spill
	v_add_f64 v[6:7], v[84:85], v[96:97]
	v_add_f64 v[96:97], v[33:34], v[80:81]
	scratch_store_b64 off, v[12:13], off offset:272 ; 8-byte Folded Spill
	v_add_f64 v[12:13], v[84:85], v[114:115]
	v_dual_mov_b32 v115, v61 :: v_dual_mov_b32 v114, v60
	s_delay_alu instid0(VALU_DEP_1)
	v_add_f64 v[16:17], v[114:115], -v[64:65]
	scratch_store_b64 off, v[6:7], off offset:104 ; 8-byte Folded Spill
	v_add_f64 v[6:7], v[86:87], v[128:129]
	scratch_store_b64 off, v[4:5], off offset:24 ; 8-byte Folded Spill
	v_add_f64 v[4:5], v[84:85], v[18:19]
	v_add_f64 v[18:19], v[53:54], v[160:161]
	scratch_store_b64 off, v[12:13], off offset:264 ; 8-byte Folded Spill
	v_add_f64 v[12:13], v[86:87], v[142:143]
	v_mul_f64 v[190:191], v[16:17], s[26:27]
	v_mul_f64 v[224:225], v[16:17], s[48:49]
	;; [unrolled: 1-line block ×3, first 2 shown]
	scratch_store_b64 off, v[4:5], off offset:40 ; 8-byte Folded Spill
	v_add_f64 v[4:5], v[86:87], v[118:119]
	v_mul_f64 v[182:183], v[18:19], s[10:11]
	v_mul_f64 v[222:223], v[18:19], s[20:21]
	;; [unrolled: 1-line block ×3, first 2 shown]
	scratch_store_b64 off, v[12:13], off offset:256 ; 8-byte Folded Spill
	v_add_f64 v[12:13], v[84:85], v[120:121]
	v_add_f64 v[120:121], v[39:40], v[72:73]
	scratch_store_b64 off, v[4:5], off offset:32 ; 8-byte Folded Spill
	v_add_f64 v[4:5], v[84:85], v[20:21]
	v_add_f64 v[20:21], v[86:87], v[134:135]
	v_mul_f64 v[134:135], v[196:197], s[56:57]
	v_fma_f64 v[28:29], v[180:181], s[40:41], v[182:183]
	scratch_store_b64 off, v[12:13], off offset:232 ; 8-byte Folded Spill
	v_add_f64 v[12:13], v[86:87], v[144:145]
	v_add_f64 v[144:145], v[31:32], -v[82:83]
	scratch_store_b64 off, v[12:13], off offset:224 ; 8-byte Folded Spill
	v_add_f64 v[12:13], v[84:85], v[122:123]
	v_mul_f64 v[122:123], v[184:185], s[30:31]
	v_mul_f64 v[200:201], v[144:145], s[30:31]
	;; [unrolled: 1-line block ×3, first 2 shown]
	scratch_store_b64 off, v[12:13], off offset:216 ; 8-byte Folded Spill
	v_add_f64 v[12:13], v[86:87], v[146:147]
	scratch_store_b64 off, v[6:7], off offset:96 ; 8-byte Folded Spill
	v_add_f64 v[146:147], v[31:32], v[82:83]
	v_add_f64 v[6:7], v[86:87], v[130:131]
	s_clause 0x2
	scratch_store_b64 off, v[12:13], off offset:208
	scratch_store_b64 off, v[0:1], off offset:176
	;; [unrolled: 1-line block ×3, first 2 shown]
	v_mul_f64 v[0:1], v[144:145], s[58:59]
	scratch_store_b64 off, v[33:34], off offset:56 ; 8-byte Folded Spill
	v_mul_f64 v[12:13], v[164:165], s[54:55]
	scratch_store_b64 off, v[37:38], off offset:112 ; 8-byte Folded Spill
	v_add_f64 v[30:31], v[53:54], -v[160:161]
	s_clause 0x5
	scratch_store_b64 off, v[39:40], off offset:168
	scratch_store_b64 off, v[45:46], off offset:192
	;; [unrolled: 1-line block ×6, first 2 shown]
	v_mul_f64 v[234:235], v[146:147], s[14:15]
	v_mul_f64 v[32:33], v[146:147], s[8:9]
	;; [unrolled: 1-line block ×7, first 2 shown]
	scratch_store_b64 off, v[41:42], off offset:160 ; 8-byte Folded Spill
	v_mul_f64 v[40:41], v[186:187], s[24:25]
	v_mul_f64 v[42:43], v[196:197], s[54:55]
	scratch_store_b64 off, v[0:1], off offset:80 ; 8-byte Folded Spill
	v_fma_f64 v[0:1], v[96:97], s[22:23], -v[0:1]
	scratch_store_b64 off, v[12:13], off offset:128 ; 8-byte Folded Spill
	v_mul_f64 v[178:179], v[30:31], s[40:41]
	v_mul_f64 v[220:221], v[30:31], s[50:51]
	;; [unrolled: 1-line block ×3, first 2 shown]
	v_add_f64 v[0:1], v[0:1], v[2:3]
	v_mul_f64 v[2:3], v[146:147], s[22:23]
	v_fma_f64 v[26:27], v[176:177], s[10:11], -v[178:179]
	scratch_store_b64 off, v[2:3], off offset:88 ; 8-byte Folded Spill
	v_fma_f64 v[2:3], v[100:101], s[58:59], v[2:3]
	s_delay_alu instid0(VALU_DEP_1)
	v_add_f64 v[2:3], v[2:3], v[24:25]
	v_fma_f64 v[24:25], v[108:109], s[20:21], -v[12:13]
	v_mul_f64 v[12:13], v[166:167], s[20:21]
	scratch_store_b64 off, v[35:36], off offset:120 ; 8-byte Folded Spill
	v_mul_f64 v[34:35], v[164:165], s[44:45]
	v_mul_f64 v[36:37], v[166:167], s[16:17]
	v_add_f64 v[0:1], v[24:25], v[0:1]
	scratch_store_b64 off, v[12:13], off offset:136 ; 8-byte Folded Spill
	v_fma_f64 v[24:25], v[112:113], s[54:55], v[12:13]
	v_add_f64 v[12:13], v[114:115], v[64:65]
	s_clause 0x3
	scratch_store_b64 off, v[51:52], off offset:296
	scratch_store_b64 off, v[66:67], off offset:280
	;; [unrolled: 1-line block ×4, first 2 shown]
	v_mul_f64 v[62:63], v[146:147], s[18:19]
	v_mul_f64 v[50:51], v[30:31], s[38:39]
	;; [unrolled: 1-line block ×3, first 2 shown]
	v_add_f64 v[2:3], v[24:25], v[2:3]
	v_fma_f64 v[24:25], v[120:121], s[18:19], -v[122:123]
	v_mul_f64 v[194:195], v[12:13], s[8:9]
	v_mul_f64 v[226:227], v[12:13], s[24:25]
	;; [unrolled: 1-line block ×3, first 2 shown]
	s_delay_alu instid0(VALU_DEP_4) | instskip(SKIP_1) | instid1(VALU_DEP_1)
	v_add_f64 v[0:1], v[24:25], v[0:1]
	v_fma_f64 v[24:25], v[124:125], s[30:31], v[126:127]
	v_add_f64 v[2:3], v[24:25], v[2:3]
	v_fma_f64 v[24:25], v[132:133], s[16:17], -v[134:135]
	s_delay_alu instid0(VALU_DEP_1) | instskip(SKIP_1) | instid1(VALU_DEP_1)
	v_add_f64 v[0:1], v[24:25], v[0:1]
	v_fma_f64 v[24:25], v[136:137], s[56:57], v[138:139]
	v_add_f64 v[2:3], v[24:25], v[2:3]
	v_fma_f64 v[24:25], v[152:153], s[14:15], -v[154:155]
	s_delay_alu instid0(VALU_DEP_1) | instskip(SKIP_1) | instid1(VALU_DEP_2)
	v_add_f64 v[0:1], v[24:25], v[0:1]
	v_fma_f64 v[24:25], v[158:159], s[28:29], v[162:163]
	v_add_f64 v[26:27], v[26:27], v[0:1]
	s_delay_alu instid0(VALU_DEP_2) | instskip(SKIP_2) | instid1(VALU_DEP_3)
	v_add_f64 v[24:25], v[24:25], v[2:3]
	v_mul_f64 v[2:3], v[16:17], s[28:29]
	v_mul_f64 v[0:1], v[12:13], s[14:15]
	v_add_f64 v[24:25], v[28:29], v[24:25]
	v_fma_f64 v[28:29], v[188:189], s[8:9], -v[190:191]
	s_delay_alu instid0(VALU_DEP_1) | instskip(SKIP_2) | instid1(VALU_DEP_2)
	v_add_f64 v[84:85], v[28:29], v[26:27]
	v_fma_f64 v[26:27], v[192:193], s[26:27], v[194:195]
	v_fma_f64 v[28:29], v[108:109], s[14:15], v[156:157]
	v_add_f64 v[86:87], v[26:27], v[24:25]
	v_fma_f64 v[24:25], v[96:97], s[18:19], v[200:201]
	v_fma_f64 v[26:27], v[100:101], s[46:47], v[62:63]
	s_delay_alu instid0(VALU_DEP_2) | instskip(NEXT) | instid1(VALU_DEP_2)
	v_add_f64 v[24:25], v[24:25], v[4:5]
	v_add_f64 v[26:27], v[26:27], v[204:205]
	scratch_load_b64 v[4:5], off, off offset:272 ; 8-byte Folded Reload
	v_add_f64 v[24:25], v[28:29], v[24:25]
	v_fma_f64 v[28:29], v[112:113], s[38:39], v[206:207]
	s_delay_alu instid0(VALU_DEP_1) | instskip(SKIP_1) | instid1(VALU_DEP_1)
	v_add_f64 v[26:27], v[28:29], v[26:27]
	v_fma_f64 v[28:29], v[120:121], s[8:9], v[208:209]
	v_add_f64 v[24:25], v[28:29], v[24:25]
	v_fma_f64 v[28:29], v[124:125], s[34:35], v[210:211]
	s_delay_alu instid0(VALU_DEP_1) | instskip(SKIP_1) | instid1(VALU_DEP_1)
	v_add_f64 v[26:27], v[28:29], v[26:27]
	v_fma_f64 v[28:29], v[132:133], s[10:11], v[212:213]
	;; [unrolled: 5-line block ×5, first 2 shown]
	v_add_f64 v[64:65], v[28:29], v[24:25]
	v_fma_f64 v[28:29], v[192:193], s[42:43], v[226:227]
	v_fma_f64 v[24:25], v[108:109], s[16:17], v[34:35]
	s_delay_alu instid0(VALU_DEP_2) | instskip(SKIP_1) | instid1(VALU_DEP_1)
	v_add_f64 v[66:67], v[28:29], v[26:27]
	v_fma_f64 v[28:29], v[96:97], s[14:15], v[232:233]
	v_add_f64 v[10:11], v[28:29], v[10:11]
	v_fma_f64 v[28:29], v[100:101], s[38:39], v[234:235]
	s_delay_alu instid0(VALU_DEP_1) | instskip(SKIP_1) | instid1(VALU_DEP_1)
	v_add_f64 v[8:9], v[28:29], v[8:9]
	v_fma_f64 v[28:29], v[108:109], s[8:9], v[236:237]
	v_add_f64 v[10:11], v[28:29], v[10:11]
	v_fma_f64 v[28:29], v[112:113], s[26:27], v[238:239]
	s_delay_alu instid0(VALU_DEP_1) | instskip(SKIP_1) | instid1(VALU_DEP_1)
	;; [unrolled: 5-line block ×5, first 2 shown]
	v_add_f64 v[8:9], v[28:29], v[8:9]
	v_fma_f64 v[28:29], v[176:177], s[18:19], v[252:253]
	v_add_f64 v[10:11], v[28:29], v[10:11]
	v_fma_f64 v[28:29], v[180:181], s[46:47], v[254:255]
	s_delay_alu instid0(VALU_DEP_1) | instskip(SKIP_2) | instid1(VALU_DEP_2)
	v_add_f64 v[204:205], v[28:29], v[8:9]
	v_fma_f64 v[8:9], v[188:189], s[10:11], v[60:61]
	v_mul_f64 v[28:29], v[144:145], s[26:27]
	v_add_f64 v[92:93], v[8:9], v[10:11]
	v_fma_f64 v[10:11], v[192:193], s[36:37], v[58:59]
	v_mul_f64 v[8:9], v[144:145], s[50:51]
	s_delay_alu instid0(VALU_DEP_2) | instskip(SKIP_1) | instid1(VALU_DEP_1)
	v_add_f64 v[94:95], v[10:11], v[204:205]
	v_fma_f64 v[10:11], v[96:97], s[8:9], v[28:29]
	v_add_f64 v[10:11], v[10:11], v[14:15]
	v_fma_f64 v[14:15], v[100:101], s[34:35], v[32:33]
	s_delay_alu instid0(VALU_DEP_2) | instskip(NEXT) | instid1(VALU_DEP_2)
	v_add_f64 v[10:11], v[24:25], v[10:11]
	v_add_f64 v[14:15], v[14:15], v[6:7]
	v_fma_f64 v[24:25], v[112:113], s[56:57], v[36:37]
	v_mul_f64 v[6:7], v[30:31], s[52:53]
	s_delay_alu instid0(VALU_DEP_2) | instskip(SKIP_1) | instid1(VALU_DEP_1)
	v_add_f64 v[14:15], v[24:25], v[14:15]
	v_fma_f64 v[24:25], v[120:121], s[24:25], v[38:39]
	v_add_f64 v[10:11], v[24:25], v[10:11]
	v_fma_f64 v[24:25], v[124:125], s[42:43], v[40:41]
	s_delay_alu instid0(VALU_DEP_1) | instskip(SKIP_1) | instid1(VALU_DEP_1)
	v_add_f64 v[14:15], v[24:25], v[14:15]
	v_fma_f64 v[24:25], v[132:133], s[20:21], v[42:43]
	v_add_f64 v[10:11], v[24:25], v[10:11]
	v_fma_f64 v[24:25], v[136:137], s[50:51], v[44:45]
	s_delay_alu instid0(VALU_DEP_1) | instskip(SKIP_1) | instid1(VALU_DEP_1)
	;; [unrolled: 5-line block ×4, first 2 shown]
	v_add_f64 v[14:15], v[24:25], v[14:15]
	v_fma_f64 v[24:25], v[188:189], s[22:23], v[52:53]
	v_add_f64 v[104:105], v[24:25], v[10:11]
	v_mul_f64 v[10:11], v[12:13], s[22:23]
	s_delay_alu instid0(VALU_DEP_1) | instskip(SKIP_1) | instid1(VALU_DEP_2)
	v_fma_f64 v[24:25], v[192:193], s[58:59], v[10:11]
	v_fma_f64 v[10:11], v[192:193], s[52:53], v[10:11]
	v_add_f64 v[106:107], v[24:25], v[14:15]
	v_mul_f64 v[14:15], v[144:145], s[36:37]
	s_delay_alu instid0(VALU_DEP_1) | instskip(SKIP_1) | instid1(VALU_DEP_2)
	v_fma_f64 v[24:25], v[96:97], s[10:11], v[14:15]
	v_fma_f64 v[14:15], v[96:97], s[10:11], -v[14:15]
	v_add_f64 v[22:23], v[24:25], v[22:23]
	v_mul_f64 v[24:25], v[146:147], s[10:11]
	s_delay_alu instid0(VALU_DEP_3) | instskip(NEXT) | instid1(VALU_DEP_2)
	v_add_f64 v[14:15], v[14:15], v[102:103]
	v_fma_f64 v[26:27], v[100:101], s[40:41], v[24:25]
	v_fma_f64 v[24:25], v[100:101], s[36:37], v[24:25]
	s_delay_alu instid0(VALU_DEP_2) | instskip(SKIP_1) | instid1(VALU_DEP_3)
	v_add_f64 v[20:21], v[26:27], v[20:21]
	v_mul_f64 v[26:27], v[164:165], s[52:53]
	v_add_f64 v[24:25], v[24:25], v[116:117]
	v_mul_f64 v[116:117], v[164:165], s[42:43]
	s_delay_alu instid0(VALU_DEP_3) | instskip(SKIP_1) | instid1(VALU_DEP_2)
	v_fma_f64 v[204:205], v[108:109], s[22:23], v[26:27]
	v_fma_f64 v[26:27], v[108:109], s[22:23], -v[26:27]
	v_add_f64 v[22:23], v[204:205], v[22:23]
	v_mul_f64 v[204:205], v[166:167], s[22:23]
	s_delay_alu instid0(VALU_DEP_3) | instskip(NEXT) | instid1(VALU_DEP_2)
	v_add_f64 v[14:15], v[26:27], v[14:15]
	v_fma_f64 v[128:129], v[112:113], s[58:59], v[204:205]
	v_fma_f64 v[26:27], v[112:113], s[52:53], v[204:205]
	v_mul_f64 v[204:205], v[16:17], s[50:51]
	s_delay_alu instid0(VALU_DEP_3) | instskip(SKIP_1) | instid1(VALU_DEP_4)
	v_add_f64 v[20:21], v[128:129], v[20:21]
	v_mul_f64 v[128:129], v[184:185], s[54:55]
	v_add_f64 v[24:25], v[26:27], v[24:25]
	s_delay_alu instid0(VALU_DEP_2) | instskip(SKIP_1) | instid1(VALU_DEP_2)
	v_fma_f64 v[130:131], v[120:121], s[20:21], v[128:129]
	v_fma_f64 v[26:27], v[120:121], s[20:21], -v[128:129]
	v_add_f64 v[22:23], v[130:131], v[22:23]
	v_mul_f64 v[130:131], v[186:187], s[20:21]
	s_delay_alu instid0(VALU_DEP_3) | instskip(NEXT) | instid1(VALU_DEP_2)
	v_add_f64 v[14:15], v[26:27], v[14:15]
	v_fma_f64 v[140:141], v[124:125], s[50:51], v[130:131]
	v_fma_f64 v[26:27], v[124:125], s[54:55], v[130:131]
	s_delay_alu instid0(VALU_DEP_2) | instskip(SKIP_1) | instid1(VALU_DEP_3)
	v_add_f64 v[20:21], v[140:141], v[20:21]
	v_mul_f64 v[140:141], v[196:197], s[26:27]
	v_add_f64 v[24:25], v[26:27], v[24:25]
	s_delay_alu instid0(VALU_DEP_2) | instskip(SKIP_1) | instid1(VALU_DEP_2)
	v_fma_f64 v[142:143], v[132:133], s[8:9], v[140:141]
	v_fma_f64 v[26:27], v[132:133], s[8:9], -v[140:141]
	v_add_f64 v[22:23], v[142:143], v[22:23]
	v_mul_f64 v[142:143], v[198:199], s[8:9]
	s_delay_alu instid0(VALU_DEP_3) | instskip(NEXT) | instid1(VALU_DEP_2)
	v_add_f64 v[14:15], v[26:27], v[14:15]
	v_fma_f64 v[148:149], v[136:137], s[34:35], v[142:143]
	v_fma_f64 v[26:27], v[136:137], s[26:27], v[142:143]
	s_delay_alu instid0(VALU_DEP_2) | instskip(SKIP_1) | instid1(VALU_DEP_3)
	;; [unrolled: 13-line block ×3, first 2 shown]
	v_add_f64 v[20:21], v[202:203], v[20:21]
	v_mul_f64 v[202:203], v[30:31], s[42:43]
	v_add_f64 v[24:25], v[26:27], v[24:25]
	s_delay_alu instid0(VALU_DEP_2) | instskip(SKIP_2) | instid1(VALU_DEP_3)
	v_fma_f64 v[118:119], v[176:177], s[24:25], v[202:203]
	v_fma_f64 v[26:27], v[176:177], s[24:25], -v[202:203]
	v_mul_f64 v[202:203], v[18:19], s[8:9]
	v_add_f64 v[22:23], v[118:119], v[22:23]
	v_mul_f64 v[118:119], v[18:19], s[24:25]
	s_delay_alu instid0(VALU_DEP_4) | instskip(NEXT) | instid1(VALU_DEP_2)
	v_add_f64 v[14:15], v[26:27], v[14:15]
	v_fma_f64 v[168:169], v[180:181], s[48:49], v[118:119]
	v_fma_f64 v[26:27], v[180:181], s[42:43], v[118:119]
	;; [unrolled: 1-line block ×3, first 2 shown]
	s_delay_alu instid0(VALU_DEP_3) | instskip(SKIP_1) | instid1(VALU_DEP_4)
	v_add_f64 v[168:169], v[168:169], v[20:21]
	v_fma_f64 v[20:21], v[188:189], s[14:15], v[2:3]
	v_add_f64 v[26:27], v[26:27], v[24:25]
	v_fma_f64 v[2:3], v[188:189], s[14:15], -v[2:3]
	s_delay_alu instid0(VALU_DEP_3) | instskip(SKIP_2) | instid1(VALU_DEP_4)
	v_add_f64 v[20:21], v[20:21], v[22:23]
	v_fma_f64 v[22:23], v[192:193], s[38:39], v[0:1]
	v_fma_f64 v[0:1], v[192:193], s[28:29], v[0:1]
	v_add_f64 v[24:25], v[2:3], v[14:15]
	v_mul_f64 v[14:15], v[146:147], s[16:17]
	s_delay_alu instid0(VALU_DEP_4) | instskip(NEXT) | instid1(VALU_DEP_4)
	v_add_f64 v[22:23], v[22:23], v[168:169]
	v_add_f64 v[26:27], v[0:1], v[26:27]
	v_mul_f64 v[0:1], v[144:145], s[44:45]
	s_delay_alu instid0(VALU_DEP_4) | instskip(SKIP_1) | instid1(VALU_DEP_3)
	v_fma_f64 v[102:103], v[100:101], s[56:57], v[14:15]
	v_fma_f64 v[14:15], v[100:101], s[44:45], v[14:15]
	;; [unrolled: 1-line block ×3, first 2 shown]
	s_delay_alu instid0(VALU_DEP_3) | instskip(SKIP_2) | instid1(VALU_DEP_4)
	v_add_f64 v[102:103], v[102:103], v[172:173]
	v_fma_f64 v[0:1], v[96:97], s[16:17], -v[0:1]
	s_waitcnt vmcnt(0)
	v_add_f64 v[14:15], v[14:15], v[4:5]
	v_mul_f64 v[4:5], v[18:19], s[22:23]
	v_mul_f64 v[18:19], v[18:19], s[16:17]
	v_add_f64 v[2:3], v[2:3], v[174:175]
	v_add_f64 v[0:1], v[0:1], v[170:171]
	s_delay_alu instid0(VALU_DEP_2) | instskip(SKIP_1) | instid1(VALU_DEP_1)
	v_add_f64 v[2:3], v[118:119], v[2:3]
	v_mul_f64 v[118:119], v[166:167], s[24:25]
	v_fma_f64 v[128:129], v[112:113], s[48:49], v[118:119]
	s_delay_alu instid0(VALU_DEP_1) | instskip(SKIP_1) | instid1(VALU_DEP_1)
	v_add_f64 v[102:103], v[128:129], v[102:103]
	v_mul_f64 v[128:129], v[184:185], s[40:41]
	v_fma_f64 v[130:131], v[120:121], s[10:11], v[128:129]
	s_delay_alu instid0(VALU_DEP_1) | instskip(SKIP_1) | instid1(VALU_DEP_1)
	;; [unrolled: 4-line block ×6, first 2 shown]
	v_add_f64 v[2:3], v[150:151], v[2:3]
	v_mul_f64 v[150:151], v[230:231], s[22:23]
	v_fma_f64 v[168:169], v[158:159], s[52:53], v[150:151]
	s_delay_alu instid0(VALU_DEP_1) | instskip(SKIP_2) | instid1(VALU_DEP_2)
	v_add_f64 v[102:103], v[168:169], v[102:103]
	v_mul_f64 v[168:169], v[30:31], s[26:27]
	v_mul_f64 v[30:31], v[30:31], s[56:57]
	v_fma_f64 v[172:173], v[176:177], s[8:9], v[168:169]
	s_delay_alu instid0(VALU_DEP_1) | instskip(SKIP_1) | instid1(VALU_DEP_1)
	v_add_f64 v[2:3], v[172:173], v[2:3]
	v_fma_f64 v[172:173], v[180:181], s[34:35], v[202:203]
	v_add_f64 v[102:103], v[172:173], v[102:103]
	v_fma_f64 v[172:173], v[188:189], s[20:21], v[204:205]
	s_delay_alu instid0(VALU_DEP_1) | instskip(SKIP_1) | instid1(VALU_DEP_1)
	v_add_f64 v[172:173], v[172:173], v[2:3]
	v_mul_f64 v[2:3], v[12:13], s[20:21]
	v_fma_f64 v[174:175], v[192:193], s[54:55], v[2:3]
	v_fma_f64 v[2:3], v[192:193], s[50:51], v[2:3]
	s_delay_alu instid0(VALU_DEP_2) | instskip(SKIP_2) | instid1(VALU_DEP_2)
	v_add_f64 v[174:175], v[174:175], v[102:103]
	v_fma_f64 v[102:103], v[108:109], s[24:25], -v[116:117]
	v_mul_f64 v[116:117], v[164:165], s[30:31]
	v_add_f64 v[0:1], v[102:103], v[0:1]
	v_fma_f64 v[102:103], v[112:113], s[42:43], v[118:119]
	s_delay_alu instid0(VALU_DEP_3) | instskip(NEXT) | instid1(VALU_DEP_2)
	v_fma_f64 v[118:119], v[108:109], s[18:19], v[116:117]
	v_add_f64 v[14:15], v[102:103], v[14:15]
	v_fma_f64 v[102:103], v[120:121], s[10:11], -v[128:129]
	s_delay_alu instid0(VALU_DEP_1) | instskip(SKIP_1) | instid1(VALU_DEP_1)
	v_add_f64 v[0:1], v[102:103], v[0:1]
	v_fma_f64 v[102:103], v[124:125], s[40:41], v[130:131]
	v_add_f64 v[14:15], v[102:103], v[14:15]
	v_fma_f64 v[102:103], v[132:133], s[18:19], -v[140:141]
	s_delay_alu instid0(VALU_DEP_1) | instskip(SKIP_1) | instid1(VALU_DEP_1)
	v_add_f64 v[0:1], v[102:103], v[0:1]
	v_fma_f64 v[102:103], v[136:137], s[46:47], v[142:143]
	v_add_f64 v[14:15], v[102:103], v[14:15]
	v_fma_f64 v[102:103], v[152:153], s[22:23], -v[148:149]
	s_delay_alu instid0(VALU_DEP_1) | instskip(SKIP_1) | instid1(VALU_DEP_1)
	v_add_f64 v[0:1], v[102:103], v[0:1]
	v_fma_f64 v[102:103], v[158:159], s[58:59], v[150:151]
	v_add_f64 v[14:15], v[102:103], v[14:15]
	v_fma_f64 v[102:103], v[176:177], s[8:9], -v[168:169]
	s_delay_alu instid0(VALU_DEP_1) | instskip(SKIP_1) | instid1(VALU_DEP_1)
	v_add_f64 v[0:1], v[102:103], v[0:1]
	v_fma_f64 v[102:103], v[180:181], s[26:27], v[202:203]
	v_add_f64 v[14:15], v[102:103], v[14:15]
	v_fma_f64 v[102:103], v[188:189], s[20:21], -v[204:205]
	s_delay_alu instid0(VALU_DEP_2) | instskip(NEXT) | instid1(VALU_DEP_2)
	v_add_f64 v[170:171], v[2:3], v[14:15]
	v_add_f64 v[168:169], v[102:103], v[0:1]
	scratch_load_b64 v[0:1], off, off offset:264 ; 8-byte Folded Reload
	v_fma_f64 v[2:3], v[96:97], s[20:21], v[8:9]
	v_mul_f64 v[14:15], v[146:147], s[20:21]
	v_fma_f64 v[8:9], v[96:97], s[20:21], -v[8:9]
	s_delay_alu instid0(VALU_DEP_2)
	v_fma_f64 v[102:103], v[100:101], s[54:55], v[14:15]
	v_fma_f64 v[14:15], v[100:101], s[50:51], v[14:15]
	s_waitcnt vmcnt(0)
	v_add_f64 v[2:3], v[2:3], v[0:1]
	scratch_load_b64 v[0:1], off, off offset:256 ; 8-byte Folded Reload
	v_add_f64 v[2:3], v[118:119], v[2:3]
	v_mul_f64 v[118:119], v[166:167], s[18:19]
	s_delay_alu instid0(VALU_DEP_1) | instskip(SKIP_4) | instid1(VALU_DEP_3)
	v_fma_f64 v[128:129], v[112:113], s[46:47], v[118:119]
	s_waitcnt vmcnt(0)
	v_add_f64 v[102:103], v[102:103], v[0:1]
	v_mul_f64 v[0:1], v[16:17], s[56:57]
	v_mul_f64 v[16:17], v[16:17], s[46:47]
	v_add_f64 v[102:103], v[128:129], v[102:103]
	v_mul_f64 v[128:129], v[184:185], s[38:39]
	s_delay_alu instid0(VALU_DEP_1) | instskip(NEXT) | instid1(VALU_DEP_1)
	v_fma_f64 v[130:131], v[120:121], s[14:15], v[128:129]
	v_add_f64 v[2:3], v[130:131], v[2:3]
	v_mul_f64 v[130:131], v[186:187], s[14:15]
	s_delay_alu instid0(VALU_DEP_1) | instskip(NEXT) | instid1(VALU_DEP_1)
	v_fma_f64 v[140:141], v[124:125], s[28:29], v[130:131]
	;; [unrolled: 4-line block ×6, first 2 shown]
	v_add_f64 v[102:103], v[202:203], v[102:103]
	v_fma_f64 v[202:203], v[176:177], s[22:23], v[6:7]
	v_fma_f64 v[6:7], v[176:177], s[22:23], -v[6:7]
	s_delay_alu instid0(VALU_DEP_2) | instskip(SKIP_2) | instid1(VALU_DEP_2)
	v_add_f64 v[2:3], v[202:203], v[2:3]
	v_fma_f64 v[202:203], v[180:181], s[58:59], v[4:5]
	v_fma_f64 v[4:5], v[180:181], s[52:53], v[4:5]
	v_add_f64 v[102:103], v[202:203], v[102:103]
	v_fma_f64 v[202:203], v[188:189], s[16:17], v[0:1]
	v_fma_f64 v[0:1], v[188:189], s[16:17], -v[0:1]
	s_delay_alu instid0(VALU_DEP_2) | instskip(SKIP_2) | instid1(VALU_DEP_2)
	v_add_f64 v[202:203], v[202:203], v[2:3]
	v_mul_f64 v[2:3], v[12:13], s[16:17]
	v_mul_f64 v[12:13], v[12:13], s[18:19]
	v_fma_f64 v[204:205], v[192:193], s[44:45], v[2:3]
	v_fma_f64 v[2:3], v[192:193], s[56:57], v[2:3]
	s_delay_alu instid0(VALU_DEP_2)
	v_add_f64 v[204:205], v[204:205], v[102:103]
	scratch_load_b64 v[102:103], off, off offset:232 ; 8-byte Folded Reload
	s_waitcnt vmcnt(0)
	v_add_f64 v[8:9], v[8:9], v[102:103]
	scratch_load_b64 v[102:103], off, off offset:224 ; 8-byte Folded Reload
	s_waitcnt vmcnt(0)
	v_add_f64 v[14:15], v[14:15], v[102:103]
	v_fma_f64 v[102:103], v[108:109], s[18:19], -v[116:117]
	s_delay_alu instid0(VALU_DEP_1) | instskip(SKIP_1) | instid1(VALU_DEP_1)
	v_add_f64 v[8:9], v[102:103], v[8:9]
	v_fma_f64 v[102:103], v[112:113], s[30:31], v[118:119]
	v_add_f64 v[14:15], v[102:103], v[14:15]
	v_fma_f64 v[102:103], v[120:121], s[14:15], -v[128:129]
	s_delay_alu instid0(VALU_DEP_1) | instskip(SKIP_1) | instid1(VALU_DEP_1)
	v_add_f64 v[8:9], v[102:103], v[8:9]
	v_fma_f64 v[102:103], v[124:125], s[38:39], v[130:131]
	;; [unrolled: 5-line block ×3, first 2 shown]
	v_add_f64 v[14:15], v[102:103], v[14:15]
	v_fma_f64 v[102:103], v[152:153], s[8:9], -v[148:149]
	s_delay_alu instid0(VALU_DEP_1) | instskip(SKIP_1) | instid1(VALU_DEP_2)
	v_add_f64 v[8:9], v[102:103], v[8:9]
	v_fma_f64 v[102:103], v[158:159], s[26:27], v[150:151]
	v_add_f64 v[6:7], v[6:7], v[8:9]
	s_delay_alu instid0(VALU_DEP_2) | instskip(SKIP_4) | instid1(VALU_DEP_2)
	v_add_f64 v[14:15], v[102:103], v[14:15]
	scratch_load_b64 v[8:9], off, off offset:208 ; 8-byte Folded Reload
	v_add_f64 v[148:149], v[0:1], v[6:7]
	v_add_f64 v[4:5], v[4:5], v[14:15]
	v_mul_f64 v[6:7], v[146:147], s[24:25]
	v_add_f64 v[150:151], v[2:3], v[4:5]
	scratch_load_b64 v[2:3], off, off offset:216 ; 8-byte Folded Reload
	v_mul_f64 v[4:5], v[144:145], s[48:49]
	s_delay_alu instid0(VALU_DEP_1) | instskip(SKIP_2) | instid1(VALU_DEP_2)
	v_fma_f64 v[0:1], v[96:97], s[24:25], v[4:5]
	v_fma_f64 v[4:5], v[96:97], s[24:25], -v[4:5]
	s_waitcnt vmcnt(0)
	v_add_f64 v[0:1], v[0:1], v[2:3]
	v_fma_f64 v[2:3], v[100:101], s[42:43], v[6:7]
	v_fma_f64 v[6:7], v[100:101], s[48:49], v[6:7]
	s_delay_alu instid0(VALU_DEP_2) | instskip(SKIP_1) | instid1(VALU_DEP_1)
	v_add_f64 v[2:3], v[2:3], v[8:9]
	v_mul_f64 v[8:9], v[164:165], s[40:41]
	v_fma_f64 v[14:15], v[108:109], s[10:11], v[8:9]
	v_fma_f64 v[8:9], v[108:109], s[10:11], -v[8:9]
	s_delay_alu instid0(VALU_DEP_2) | instskip(SKIP_1) | instid1(VALU_DEP_1)
	v_add_f64 v[0:1], v[14:15], v[0:1]
	v_mul_f64 v[14:15], v[166:167], s[10:11]
	v_fma_f64 v[102:103], v[112:113], s[36:37], v[14:15]
	s_delay_alu instid0(VALU_DEP_1) | instskip(SKIP_1) | instid1(VALU_DEP_1)
	v_add_f64 v[2:3], v[102:103], v[2:3]
	v_mul_f64 v[102:103], v[184:185], s[52:53]
	v_fma_f64 v[116:117], v[120:121], s[22:23], v[102:103]
	s_delay_alu instid0(VALU_DEP_1) | instskip(SKIP_1) | instid1(VALU_DEP_1)
	;; [unrolled: 4-line block ×7, first 2 shown]
	v_add_f64 v[2:3], v[142:143], v[2:3]
	v_fma_f64 v[142:143], v[176:177], s[16:17], v[30:31]
	v_add_f64 v[0:1], v[142:143], v[0:1]
	v_fma_f64 v[142:143], v[180:181], s[44:45], v[18:19]
	s_delay_alu instid0(VALU_DEP_1) | instskip(SKIP_1) | instid1(VALU_DEP_1)
	v_add_f64 v[2:3], v[142:143], v[2:3]
	v_fma_f64 v[142:143], v[188:189], s[18:19], v[16:17]
	v_add_f64 v[0:1], v[142:143], v[0:1]
	v_fma_f64 v[142:143], v[192:193], s[30:31], v[12:13]
	v_fma_f64 v[12:13], v[192:193], s[46:47], v[12:13]
	s_delay_alu instid0(VALU_DEP_2)
	v_add_f64 v[2:3], v[142:143], v[2:3]
	scratch_load_b64 v[142:143], off, off offset:184 ; 8-byte Folded Reload
	s_waitcnt vmcnt(0)
	v_add_f64 v[4:5], v[4:5], v[142:143]
	scratch_load_b64 v[142:143], off, off offset:176 ; 8-byte Folded Reload
	v_add_f64 v[4:5], v[8:9], v[4:5]
	v_fma_f64 v[8:9], v[112:113], s[40:41], v[14:15]
	s_waitcnt vmcnt(0)
	v_add_f64 v[6:7], v[6:7], v[142:143]
	s_delay_alu instid0(VALU_DEP_1) | instskip(SKIP_1) | instid1(VALU_DEP_1)
	v_add_f64 v[6:7], v[8:9], v[6:7]
	v_fma_f64 v[8:9], v[120:121], s[22:23], -v[102:103]
	v_add_f64 v[4:5], v[8:9], v[4:5]
	v_fma_f64 v[8:9], v[124:125], s[52:53], v[116:117]
	s_delay_alu instid0(VALU_DEP_1) | instskip(SKIP_1) | instid1(VALU_DEP_1)
	v_add_f64 v[6:7], v[8:9], v[6:7]
	v_fma_f64 v[8:9], v[132:133], s[14:15], -v[118:119]
	v_add_f64 v[4:5], v[8:9], v[4:5]
	v_fma_f64 v[8:9], v[136:137], s[28:29], v[128:129]
	s_delay_alu instid0(VALU_DEP_1) | instskip(SKIP_1) | instid1(VALU_DEP_1)
	v_add_f64 v[6:7], v[8:9], v[6:7]
	v_fma_f64 v[8:9], v[152:153], s[20:21], -v[130:131]
	v_add_f64 v[4:5], v[8:9], v[4:5]
	v_fma_f64 v[8:9], v[158:159], s[50:51], v[140:141]
	s_delay_alu instid0(VALU_DEP_1) | instskip(SKIP_1) | instid1(VALU_DEP_1)
	v_add_f64 v[6:7], v[8:9], v[6:7]
	v_fma_f64 v[8:9], v[176:177], s[16:17], -v[30:31]
	v_add_f64 v[4:5], v[8:9], v[4:5]
	v_fma_f64 v[8:9], v[180:181], s[56:57], v[18:19]
	s_delay_alu instid0(VALU_DEP_1) | instskip(SKIP_1) | instid1(VALU_DEP_2)
	v_add_f64 v[6:7], v[8:9], v[6:7]
	v_fma_f64 v[8:9], v[188:189], s[18:19], -v[16:17]
	v_add_f64 v[130:131], v[12:13], v[6:7]
	scratch_load_b64 v[6:7], off, off offset:152 ; 8-byte Folded Reload
	v_add_f64 v[128:129], v[8:9], v[4:5]
	scratch_load_b64 v[8:9], off, off offset:144 ; 8-byte Folded Reload
	v_fma_f64 v[4:5], v[96:97], s[8:9], -v[28:29]
	v_fma_f64 v[12:13], v[180:181], s[36:37], v[182:183]
	s_waitcnt vmcnt(1)
	s_delay_alu instid0(VALU_DEP_2) | instskip(SKIP_2) | instid1(VALU_DEP_1)
	v_add_f64 v[4:5], v[4:5], v[6:7]
	v_fma_f64 v[6:7], v[100:101], s[26:27], v[32:33]
	s_waitcnt vmcnt(0)
	v_add_f64 v[6:7], v[6:7], v[8:9]
	v_fma_f64 v[8:9], v[108:109], s[16:17], -v[34:35]
	s_delay_alu instid0(VALU_DEP_1) | instskip(SKIP_1) | instid1(VALU_DEP_1)
	v_add_f64 v[4:5], v[8:9], v[4:5]
	v_fma_f64 v[8:9], v[112:113], s[44:45], v[36:37]
	v_add_f64 v[6:7], v[8:9], v[6:7]
	v_fma_f64 v[8:9], v[120:121], s[24:25], -v[38:39]
	s_delay_alu instid0(VALU_DEP_1) | instskip(SKIP_1) | instid1(VALU_DEP_1)
	v_add_f64 v[4:5], v[8:9], v[4:5]
	v_fma_f64 v[8:9], v[124:125], s[48:49], v[40:41]
	;; [unrolled: 5-line block ×5, first 2 shown]
	v_add_f64 v[6:7], v[8:9], v[6:7]
	v_fma_f64 v[8:9], v[188:189], s[22:23], -v[52:53]
	s_delay_alu instid0(VALU_DEP_2)
	v_add_f64 v[118:119], v[10:11], v[6:7]
	scratch_load_b64 v[6:7], off, off offset:104 ; 8-byte Folded Reload
	v_add_f64 v[116:117], v[8:9], v[4:5]
	scratch_load_b64 v[8:9], off, off offset:96 ; 8-byte Folded Reload
	v_fma_f64 v[4:5], v[96:97], s[14:15], -v[232:233]
	v_fma_f64 v[10:11], v[192:193], s[40:41], v[58:59]
	s_waitcnt vmcnt(1)
	s_delay_alu instid0(VALU_DEP_2) | instskip(SKIP_2) | instid1(VALU_DEP_1)
	v_add_f64 v[4:5], v[4:5], v[6:7]
	v_fma_f64 v[6:7], v[100:101], s[28:29], v[234:235]
	s_waitcnt vmcnt(0)
	v_add_f64 v[6:7], v[6:7], v[8:9]
	v_fma_f64 v[8:9], v[108:109], s[8:9], -v[236:237]
	s_delay_alu instid0(VALU_DEP_1) | instskip(SKIP_1) | instid1(VALU_DEP_1)
	v_add_f64 v[4:5], v[8:9], v[4:5]
	v_fma_f64 v[8:9], v[112:113], s[34:35], v[238:239]
	v_add_f64 v[6:7], v[8:9], v[6:7]
	v_fma_f64 v[8:9], v[120:121], s[16:17], -v[240:241]
	s_delay_alu instid0(VALU_DEP_1) | instskip(SKIP_1) | instid1(VALU_DEP_1)
	v_add_f64 v[4:5], v[8:9], v[4:5]
	v_fma_f64 v[8:9], v[124:125], s[44:45], v[242:243]
	;; [unrolled: 5-line block ×5, first 2 shown]
	v_add_f64 v[6:7], v[8:9], v[6:7]
	v_fma_f64 v[8:9], v[188:189], s[10:11], -v[60:61]
	s_delay_alu instid0(VALU_DEP_2)
	v_add_f64 v[30:31], v[10:11], v[6:7]
	scratch_load_b64 v[6:7], off, off offset:72 ; 8-byte Folded Reload
	v_add_f64 v[28:29], v[8:9], v[4:5]
	scratch_load_b64 v[8:9], off, off offset:64 ; 8-byte Folded Reload
	v_fma_f64 v[4:5], v[96:97], s[18:19], -v[200:201]
	v_fma_f64 v[10:11], v[192:193], s[48:49], v[226:227]
	s_waitcnt vmcnt(1)
	s_delay_alu instid0(VALU_DEP_2) | instskip(SKIP_2) | instid1(VALU_DEP_1)
	v_add_f64 v[4:5], v[4:5], v[6:7]
	v_fma_f64 v[6:7], v[100:101], s[30:31], v[62:63]
	s_waitcnt vmcnt(0)
	v_add_f64 v[6:7], v[6:7], v[8:9]
	v_fma_f64 v[8:9], v[108:109], s[14:15], -v[156:157]
	s_delay_alu instid0(VALU_DEP_1) | instskip(SKIP_1) | instid1(VALU_DEP_1)
	v_add_f64 v[4:5], v[8:9], v[4:5]
	v_fma_f64 v[8:9], v[112:113], s[28:29], v[206:207]
	v_add_f64 v[6:7], v[8:9], v[6:7]
	v_fma_f64 v[8:9], v[120:121], s[8:9], -v[208:209]
	s_delay_alu instid0(VALU_DEP_1) | instskip(SKIP_1) | instid1(VALU_DEP_1)
	v_add_f64 v[4:5], v[8:9], v[4:5]
	v_fma_f64 v[8:9], v[124:125], s[26:27], v[210:211]
	;; [unrolled: 5-line block ×5, first 2 shown]
	v_add_f64 v[6:7], v[8:9], v[6:7]
	v_fma_f64 v[8:9], v[188:189], s[24:25], -v[224:225]
	s_delay_alu instid0(VALU_DEP_2) | instskip(NEXT) | instid1(VALU_DEP_2)
	v_add_f64 v[142:143], v[10:11], v[6:7]
	v_add_f64 v[140:141], v[8:9], v[4:5]
	s_clause 0x3
	scratch_load_b64 v[4:5], off, off offset:80
	scratch_load_b64 v[6:7], off, off offset:88
	;; [unrolled: 1-line block ×4, first 2 shown]
	s_waitcnt vmcnt(3)
	v_fma_f64 v[4:5], v[96:97], s[22:23], v[4:5]
	s_waitcnt vmcnt(2)
	v_fma_f64 v[6:7], v[100:101], s[52:53], v[6:7]
	s_waitcnt vmcnt(1)
	s_delay_alu instid0(VALU_DEP_2)
	v_add_f64 v[4:5], v[4:5], v[8:9]
	scratch_load_b64 v[8:9], off, off offset:128 ; 8-byte Folded Reload
	s_waitcnt vmcnt(1)
	v_add_f64 v[6:7], v[6:7], v[10:11]
	scratch_load_b64 v[10:11], off, off offset:136 ; 8-byte Folded Reload
	s_waitcnt vmcnt(1)
	v_fma_f64 v[8:9], v[108:109], s[20:21], v[8:9]
	s_waitcnt vmcnt(0)
	v_fma_f64 v[10:11], v[112:113], s[50:51], v[10:11]
	s_delay_alu instid0(VALU_DEP_2) | instskip(SKIP_1) | instid1(VALU_DEP_3)
	v_add_f64 v[4:5], v[8:9], v[4:5]
	v_fma_f64 v[8:9], v[120:121], s[18:19], v[122:123]
	v_add_f64 v[6:7], v[10:11], v[6:7]
	v_fma_f64 v[10:11], v[124:125], s[46:47], v[126:127]
	s_delay_alu instid0(VALU_DEP_3) | instskip(SKIP_1) | instid1(VALU_DEP_3)
	v_add_f64 v[4:5], v[8:9], v[4:5]
	v_fma_f64 v[8:9], v[132:133], s[16:17], v[134:135]
	v_add_f64 v[6:7], v[10:11], v[6:7]
	v_fma_f64 v[10:11], v[136:137], s[44:45], v[138:139]
	s_delay_alu instid0(VALU_DEP_3) | instskip(SKIP_1) | instid1(VALU_DEP_3)
	;; [unrolled: 5-line block ×3, first 2 shown]
	v_add_f64 v[4:5], v[8:9], v[4:5]
	v_fma_f64 v[8:9], v[176:177], s[10:11], v[178:179]
	v_add_f64 v[6:7], v[10:11], v[6:7]
	v_fma_f64 v[10:11], v[188:189], s[8:9], v[190:191]
	s_delay_alu instid0(VALU_DEP_3) | instskip(SKIP_1) | instid1(VALU_DEP_4)
	v_add_f64 v[4:5], v[8:9], v[4:5]
	v_fma_f64 v[8:9], v[192:193], s[34:35], v[194:195]
	v_add_f64 v[6:7], v[12:13], v[6:7]
	s_delay_alu instid0(VALU_DEP_3) | instskip(NEXT) | instid1(VALU_DEP_2)
	v_add_f64 v[100:101], v[10:11], v[4:5]
	v_add_f64 v[102:103], v[8:9], v[6:7]
	s_clause 0x1
	scratch_load_b64 v[4:5], off, off offset:16
	scratch_load_b64 v[6:7], off, off offset:56
	s_waitcnt vmcnt(0)
	v_add_f64 v[4:5], v[4:5], v[6:7]
	s_clause 0x1
	scratch_load_b64 v[6:7], off, off offset:24
	scratch_load_b64 v[8:9], off, off offset:48
	s_waitcnt vmcnt(0)
	v_add_f64 v[6:7], v[6:7], v[8:9]
	scratch_load_b64 v[8:9], off, off offset:120 ; 8-byte Folded Reload
	s_waitcnt vmcnt(0)
	v_add_f64 v[4:5], v[4:5], v[8:9]
	scratch_load_b64 v[8:9], off, off offset:112 ; 8-byte Folded Reload
	;; [unrolled: 3-line block ×10, first 2 shown]
	v_add_f64 v[4:5], v[4:5], v[110:111]
	s_waitcnt vmcnt(0)
	v_add_f64 v[6:7], v[6:7], v[8:9]
	scratch_load_b64 v[8:9], off, off offset:312 ; 8-byte Folded Reload
	v_add_f64 v[6:7], v[6:7], v[114:115]
	s_waitcnt vmcnt(0)
	v_add_f64 v[4:5], v[4:5], v[8:9]
	scratch_load_b64 v[8:9], off, off offset:304 ; 8-byte Folded Reload
	s_waitcnt vmcnt(0)
	v_add_f64 v[6:7], v[6:7], v[8:9]
	scratch_load_b64 v[8:9], off, off offset:280 ; 8-byte Folded Reload
	v_add_f64 v[6:7], v[6:7], v[160:161]
	s_delay_alu instid0(VALU_DEP_1) | instskip(NEXT) | instid1(VALU_DEP_1)
	v_add_f64 v[6:7], v[6:7], v[90:91]
	v_add_f64 v[6:7], v[6:7], v[70:71]
	s_delay_alu instid0(VALU_DEP_1) | instskip(NEXT) | instid1(VALU_DEP_1)
	v_add_f64 v[6:7], v[6:7], v[74:75]
	v_add_f64 v[6:7], v[6:7], v[78:79]
	s_delay_alu instid0(VALU_DEP_1) | instskip(SKIP_2) | instid1(VALU_DEP_1)
	v_add_f64 v[6:7], v[6:7], v[82:83]
	s_waitcnt vmcnt(0)
	v_add_f64 v[4:5], v[4:5], v[8:9]
	v_add_f64 v[4:5], v[4:5], v[56:57]
	s_delay_alu instid0(VALU_DEP_1) | instskip(NEXT) | instid1(VALU_DEP_1)
	v_add_f64 v[4:5], v[4:5], v[68:69]
	v_add_f64 v[4:5], v[4:5], v[72:73]
	s_delay_alu instid0(VALU_DEP_1) | instskip(NEXT) | instid1(VALU_DEP_1)
	v_add_f64 v[4:5], v[4:5], v[76:77]
	v_add_f64 v[4:5], v[4:5], v[80:81]
	s_delay_alu instid0(VALU_DEP_1)
	v_add_f64 v[32:33], v[4:5], v[98:99]
	scratch_load_b64 v[4:5], off, off offset:8 ; 8-byte Folded Reload
	s_waitcnt vmcnt(0)
	s_waitcnt_vscnt null, 0x0
	s_barrier
	buffer_gl0_inv
	v_add_f64 v[34:35], v[6:7], v[4:5]
	ds_store_b128 v89, v[64:67] offset:544
	ds_store_b128 v89, v[92:95] offset:816
	;; [unrolled: 1-line block ×16, first 2 shown]
	ds_store_b128 v89, v[32:35]
	s_waitcnt lgkmcnt(0)
	s_barrier
	buffer_gl0_inv
	s_and_saveexec_b32 s8, s33
	s_cbranch_execz .LBB0_16
; %bb.15:
	s_clause 0x5
	scratch_load_b32 v8, off, off
	scratch_load_b32 v2, off, off offset:4
	scratch_load_b32 v24, off, off offset:364
	;; [unrolled: 1-line block ×5, first 2 shown]
	v_mad_u64_u32 v[6:7], null, s4, v88, 0
	s_lshl_b64 s[0:1], s[0:1], 4
	v_lshlrev_b32_e32 v1, 4, v88
	s_add_u32 s0, s2, s0
	s_addc_u32 s1, s3, s1
	s_waitcnt vmcnt(5)
	v_mad_u64_u32 v[4:5], null, s6, v8, 0
	s_waitcnt vmcnt(4)
	v_add3_u32 v25, 0, v2, v1
	v_mov_b32_e32 v1, v7
	s_waitcnt vmcnt(2)
	v_mad_u64_u32 v[21:22], null, s4, v28, 0
	s_waitcnt vmcnt(0)
	v_mad_u64_u32 v[13:14], null, s4, v19, 0
	v_dual_mov_b32 v0, v5 :: v_dual_add_nc_u32 v15, 17, v88
	s_delay_alu instid0(VALU_DEP_1) | instskip(NEXT) | instid1(VALU_DEP_2)
	v_mad_u64_u32 v[2:3], null, s7, v8, v[0:1]
	v_mad_u64_u32 v[8:9], null, s4, v15, 0
	s_delay_alu instid0(VALU_DEP_2) | instskip(SKIP_1) | instid1(VALU_DEP_1)
	v_mad_u64_u32 v[10:11], null, s5, v88, v[1:2]
	v_mad_u64_u32 v[11:12], null, s4, v20, 0
	v_dual_mov_b32 v7, v10 :: v_dual_mov_b32 v10, v12
	s_delay_alu instid0(VALU_DEP_1) | instskip(NEXT) | instid1(VALU_DEP_2)
	v_lshlrev_b64 v[6:7], 4, v[6:7]
	v_mad_u64_u32 v[17:18], null, s5, v20, v[10:11]
	v_mov_b32_e32 v5, v2
	ds_load_b128 v[0:3], v25
	v_mov_b32_e32 v12, v17
	v_lshlrev_b64 v[4:5], 4, v[4:5]
	s_delay_alu instid0(VALU_DEP_1) | instskip(NEXT) | instid1(VALU_DEP_2)
	v_add_co_u32 v26, vcc_lo, s0, v4
	v_add_co_ci_u32_e32 v27, vcc_lo, s1, v5, vcc_lo
	v_mad_u64_u32 v[4:5], null, s5, v15, v[9:10]
	s_delay_alu instid0(VALU_DEP_3) | instskip(NEXT) | instid1(VALU_DEP_3)
	v_add_co_u32 v15, vcc_lo, v26, v6
	v_add_co_ci_u32_e32 v16, vcc_lo, v27, v7, vcc_lo
	s_delay_alu instid0(VALU_DEP_3)
	v_mov_b32_e32 v9, v4
	ds_load_b128 v[4:7], v25 offset:272
	s_waitcnt lgkmcnt(1)
	global_store_b128 v[15:16], v[0:3], off
	v_mov_b32_e32 v0, v14
	v_mad_u64_u32 v[15:16], null, s4, v24, 0
	v_lshlrev_b64 v[1:2], 4, v[8:9]
	s_delay_alu instid0(VALU_DEP_1) | instskip(SKIP_1) | instid1(VALU_DEP_3)
	v_mad_u64_u32 v[8:9], null, s5, v19, v[0:1]
	v_add_co_u32 v17, vcc_lo, v26, v1
	v_add_co_ci_u32_e32 v18, vcc_lo, v27, v2, vcc_lo
	ds_load_b128 v[0:3], v25 offset:544
	v_lshlrev_b64 v[19:20], 4, v[11:12]
	v_mov_b32_e32 v14, v8
	ds_load_b128 v[8:11], v25 offset:816
	v_mov_b32_e32 v12, v16
	v_mov_b32_e32 v16, v22
	v_add_co_u32 v19, vcc_lo, v26, v19
	v_lshlrev_b64 v[13:14], 4, v[13:14]
	v_add_co_ci_u32_e32 v20, vcc_lo, v27, v20, vcc_lo
	s_delay_alu instid0(VALU_DEP_2) | instskip(SKIP_1) | instid1(VALU_DEP_4)
	v_mad_u64_u32 v[22:23], null, s5, v24, v[12:13]
	v_add_co_u32 v12, vcc_lo, v26, v13
	v_add_co_ci_u32_e32 v13, vcc_lo, v27, v14, vcc_lo
	s_waitcnt lgkmcnt(2)
	global_store_b128 v[17:18], v[4:7], off
	s_waitcnt lgkmcnt(1)
	global_store_b128 v[19:20], v[0:3], off
	;; [unrolled: 2-line block ×3, first 2 shown]
	scratch_load_b32 v18, off, off offset:360 ; 4-byte Folded Reload
	ds_load_b128 v[0:3], v25 offset:1088
	ds_load_b128 v[4:7], v25 offset:1360
	s_clause 0x1
	scratch_load_b32 v19, off, off offset:356
	scratch_load_b32 v20, off, off offset:352
	v_mad_u64_u32 v[23:24], null, s5, v28, v[16:17]
	v_mov_b32_e32 v16, v22
	s_delay_alu instid0(VALU_DEP_1) | instskip(NEXT) | instid1(VALU_DEP_1)
	v_lshlrev_b64 v[10:11], 4, v[15:16]
	v_add_co_u32 v10, vcc_lo, v26, v10
	s_delay_alu instid0(VALU_DEP_2) | instskip(SKIP_4) | instid1(VALU_DEP_2)
	v_add_co_ci_u32_e32 v11, vcc_lo, v27, v11, vcc_lo
	s_waitcnt vmcnt(2)
	v_mad_u64_u32 v[8:9], null, s4, v18, 0
	s_waitcnt vmcnt(1)
	v_mad_u64_u32 v[14:15], null, s4, v19, 0
	v_mad_u64_u32 v[16:17], null, s5, v18, v[9:10]
	v_mov_b32_e32 v22, v23
	s_delay_alu instid0(VALU_DEP_3) | instskip(NEXT) | instid1(VALU_DEP_1)
	v_mov_b32_e32 v9, v15
	v_mad_u64_u32 v[17:18], null, s5, v19, v[9:10]
	s_delay_alu instid0(VALU_DEP_4) | instskip(NEXT) | instid1(VALU_DEP_4)
	v_mov_b32_e32 v9, v16
	v_lshlrev_b64 v[12:13], 4, v[21:22]
	s_waitcnt vmcnt(0)
	v_mad_u64_u32 v[18:19], null, s4, v20, 0
	s_delay_alu instid0(VALU_DEP_3) | instskip(SKIP_1) | instid1(VALU_DEP_4)
	v_lshlrev_b64 v[8:9], 4, v[8:9]
	v_mov_b32_e32 v15, v17
	v_add_co_u32 v12, vcc_lo, v26, v12
	v_add_co_ci_u32_e32 v13, vcc_lo, v27, v13, vcc_lo
	s_waitcnt lgkmcnt(1)
	global_store_b128 v[10:11], v[0:3], off
	s_waitcnt lgkmcnt(0)
	global_store_b128 v[12:13], v[4:7], off
	ds_load_b128 v[0:3], v25 offset:1632
	ds_load_b128 v[4:7], v25 offset:1904
	s_clause 0x1
	scratch_load_b32 v11, off, off offset:348
	scratch_load_b32 v23, off, off offset:344
	v_mov_b32_e32 v10, v19
	v_lshlrev_b64 v[14:15], 4, v[14:15]
	s_waitcnt vmcnt(1)
	v_mad_u64_u32 v[12:13], null, s4, v11, 0
	s_delay_alu instid0(VALU_DEP_3) | instskip(SKIP_2) | instid1(VALU_DEP_4)
	v_mad_u64_u32 v[16:17], null, s5, v20, v[10:11]
	v_add_co_u32 v20, vcc_lo, v26, v8
	v_add_co_ci_u32_e32 v21, vcc_lo, v27, v9, vcc_lo
	v_mov_b32_e32 v8, v13
	v_add_co_u32 v13, vcc_lo, v26, v14
	v_add_co_ci_u32_e32 v14, vcc_lo, v27, v15, vcc_lo
	v_mov_b32_e32 v19, v16
	s_delay_alu instid0(VALU_DEP_4)
	v_mad_u64_u32 v[15:16], null, s5, v11, v[8:9]
	ds_load_b128 v[8:11], v25 offset:2176
	s_waitcnt lgkmcnt(2)
	global_store_b128 v[20:21], v[0:3], off
	s_waitcnt lgkmcnt(1)
	global_store_b128 v[13:14], v[4:7], off
	v_lshlrev_b64 v[4:5], 4, v[18:19]
	scratch_load_b32 v19, off, off offset:340 ; 4-byte Folded Reload
	s_waitcnt vmcnt(1)
	v_mad_u64_u32 v[16:17], null, s4, v23, 0
	v_mov_b32_e32 v13, v15
	ds_load_b128 v[0:3], v25 offset:2448
	v_add_co_u32 v4, vcc_lo, v26, v4
	v_add_co_ci_u32_e32 v5, vcc_lo, v27, v5, vcc_lo
	v_mov_b32_e32 v6, v17
	v_lshlrev_b64 v[12:13], 4, v[12:13]
	s_delay_alu instid0(VALU_DEP_2)
	v_mad_u64_u32 v[17:18], null, s5, v23, v[6:7]
	s_waitcnt lgkmcnt(1)
	global_store_b128 v[4:5], v[8:11], off
	scratch_load_b32 v11, off, off offset:336 ; 4-byte Folded Reload
	v_add_co_u32 v5, vcc_lo, v26, v12
	v_add_co_ci_u32_e32 v6, vcc_lo, v27, v13, vcc_lo
	s_waitcnt vmcnt(1)
	v_mad_u64_u32 v[14:15], null, s4, v19, 0
	s_delay_alu instid0(VALU_DEP_1) | instskip(NEXT) | instid1(VALU_DEP_1)
	v_mov_b32_e32 v4, v15
	v_mad_u64_u32 v[7:8], null, s5, v19, v[4:5]
	v_lshlrev_b64 v[8:9], 4, v[16:17]
	s_waitcnt vmcnt(0)
	v_mad_u64_u32 v[12:13], null, s4, v11, 0
	s_delay_alu instid0(VALU_DEP_2) | instskip(NEXT) | instid1(VALU_DEP_3)
	v_add_co_u32 v16, vcc_lo, v26, v8
	v_add_co_ci_u32_e32 v17, vcc_lo, v27, v9, vcc_lo
	s_delay_alu instid0(VALU_DEP_3) | instskip(NEXT) | instid1(VALU_DEP_1)
	v_dual_mov_b32 v15, v7 :: v_dual_mov_b32 v10, v13
	v_lshlrev_b64 v[13:14], 4, v[14:15]
	s_delay_alu instid0(VALU_DEP_2)
	v_mad_u64_u32 v[18:19], null, s5, v11, v[10:11]
	ds_load_b128 v[8:11], v25 offset:3264
	s_waitcnt lgkmcnt(1)
	global_store_b128 v[5:6], v[0:3], off
	ds_load_b128 v[0:3], v25 offset:2720
	ds_load_b128 v[4:7], v25 offset:2992
	scratch_load_b32 v15, off, off offset:332 ; 4-byte Folded Reload
	v_add_co_u32 v21, vcc_lo, v26, v13
	v_mov_b32_e32 v13, v18
	v_add_co_ci_u32_e32 v22, vcc_lo, v27, v14, vcc_lo
	scratch_load_b32 v18, off, off offset:324 ; 4-byte Folded Reload
	s_waitcnt lgkmcnt(1)
	global_store_b128 v[16:17], v[0:3], off
	v_lshlrev_b64 v[1:2], 4, v[12:13]
	s_waitcnt lgkmcnt(0)
	global_store_b128 v[21:22], v[4:7], off
	scratch_load_b32 v21, off, off offset:328 ; 4-byte Folded Reload
	v_add_co_u32 v12, vcc_lo, v26, v1
	v_add_co_ci_u32_e32 v13, vcc_lo, v27, v2, vcc_lo
	global_store_b128 v[12:13], v[8:11], off
	scratch_load_b32 v12, off, off offset:320 ; 4-byte Folded Reload
	s_waitcnt vmcnt(3)
	v_mad_u64_u32 v[19:20], null, s4, v15, 0
	s_delay_alu instid0(VALU_DEP_1) | instskip(NEXT) | instid1(VALU_DEP_1)
	v_mov_b32_e32 v0, v20
	v_mad_u64_u32 v[4:5], null, s5, v15, v[0:1]
	s_waitcnt vmcnt(2)
	v_mad_u64_u32 v[5:6], null, s4, v18, 0
	ds_load_b128 v[0:3], v25 offset:3536
	s_waitcnt vmcnt(1)
	v_mad_u64_u32 v[14:15], null, s4, v21, 0
	v_mov_b32_e32 v20, v4
	v_mov_b32_e32 v4, v6
	s_delay_alu instid0(VALU_DEP_2) | instskip(NEXT) | instid1(VALU_DEP_4)
	v_lshlrev_b64 v[7:8], 4, v[19:20]
	v_mov_b32_e32 v6, v15
	s_delay_alu instid0(VALU_DEP_3) | instskip(SKIP_2) | instid1(VALU_DEP_3)
	v_mad_u64_u32 v[9:10], null, s5, v18, v[4:5]
	s_waitcnt vmcnt(0)
	v_mad_u64_u32 v[16:17], null, s4, v12, 0
	v_mad_u64_u32 v[10:11], null, s5, v21, v[6:7]
	v_add_co_u32 v18, vcc_lo, v26, v7
	s_delay_alu instid0(VALU_DEP_4) | instskip(SKIP_1) | instid1(VALU_DEP_4)
	v_mov_b32_e32 v6, v9
	v_add_co_ci_u32_e32 v19, vcc_lo, v27, v8, vcc_lo
	v_dual_mov_b32 v4, v17 :: v_dual_mov_b32 v15, v10
	s_delay_alu instid0(VALU_DEP_1) | instskip(NEXT) | instid1(VALU_DEP_4)
	v_mad_u64_u32 v[20:21], null, s5, v12, v[4:5]
	v_lshlrev_b64 v[21:22], 4, v[5:6]
	ds_load_b128 v[4:7], v25 offset:3808
	ds_load_b128 v[8:11], v25 offset:4080
	v_lshlrev_b64 v[23:24], 4, v[14:15]
	ds_load_b128 v[12:15], v25 offset:4352
	v_mov_b32_e32 v17, v20
	v_add_co_u32 v20, vcc_lo, v26, v21
	v_add_co_ci_u32_e32 v21, vcc_lo, v27, v22, vcc_lo
	s_delay_alu instid0(VALU_DEP_3) | instskip(SKIP_2) | instid1(VALU_DEP_3)
	v_lshlrev_b64 v[16:17], 4, v[16:17]
	v_add_co_u32 v22, vcc_lo, v26, v23
	v_add_co_ci_u32_e32 v23, vcc_lo, v27, v24, vcc_lo
	v_add_co_u32 v16, vcc_lo, v26, v16
	s_delay_alu instid0(VALU_DEP_4)
	v_add_co_ci_u32_e32 v17, vcc_lo, v27, v17, vcc_lo
	s_waitcnt lgkmcnt(3)
	global_store_b128 v[18:19], v[0:3], off
	s_waitcnt lgkmcnt(2)
	global_store_b128 v[20:21], v[4:7], off
	;; [unrolled: 2-line block ×4, first 2 shown]
.LBB0_16:
	s_nop 0
	s_sendmsg sendmsg(MSG_DEALLOC_VGPRS)
	s_endpgm
	.section	.rodata,"a",@progbits
	.p2align	6, 0x0
	.amdhsa_kernel fft_rtc_back_len289_factors_17_17_wgs_119_tpt_17_dp_ip_CI_sbcc
		.amdhsa_group_segment_fixed_size 0
		.amdhsa_private_segment_fixed_size 384
		.amdhsa_kernarg_size 96
		.amdhsa_user_sgpr_count 15
		.amdhsa_user_sgpr_dispatch_ptr 0
		.amdhsa_user_sgpr_queue_ptr 0
		.amdhsa_user_sgpr_kernarg_segment_ptr 1
		.amdhsa_user_sgpr_dispatch_id 0
		.amdhsa_user_sgpr_private_segment_size 0
		.amdhsa_wavefront_size32 1
		.amdhsa_uses_dynamic_stack 0
		.amdhsa_enable_private_segment 1
		.amdhsa_system_sgpr_workgroup_id_x 1
		.amdhsa_system_sgpr_workgroup_id_y 0
		.amdhsa_system_sgpr_workgroup_id_z 0
		.amdhsa_system_sgpr_workgroup_info 0
		.amdhsa_system_vgpr_workitem_id 0
		.amdhsa_next_free_vgpr 256
		.amdhsa_next_free_sgpr 60
		.amdhsa_reserve_vcc 1
		.amdhsa_float_round_mode_32 0
		.amdhsa_float_round_mode_16_64 0
		.amdhsa_float_denorm_mode_32 3
		.amdhsa_float_denorm_mode_16_64 3
		.amdhsa_dx10_clamp 1
		.amdhsa_ieee_mode 1
		.amdhsa_fp16_overflow 0
		.amdhsa_workgroup_processor_mode 1
		.amdhsa_memory_ordered 1
		.amdhsa_forward_progress 0
		.amdhsa_shared_vgpr_count 0
		.amdhsa_exception_fp_ieee_invalid_op 0
		.amdhsa_exception_fp_denorm_src 0
		.amdhsa_exception_fp_ieee_div_zero 0
		.amdhsa_exception_fp_ieee_overflow 0
		.amdhsa_exception_fp_ieee_underflow 0
		.amdhsa_exception_fp_ieee_inexact 0
		.amdhsa_exception_int_div_zero 0
	.end_amdhsa_kernel
	.text
.Lfunc_end0:
	.size	fft_rtc_back_len289_factors_17_17_wgs_119_tpt_17_dp_ip_CI_sbcc, .Lfunc_end0-fft_rtc_back_len289_factors_17_17_wgs_119_tpt_17_dp_ip_CI_sbcc
                                        ; -- End function
	.section	.AMDGPU.csdata,"",@progbits
; Kernel info:
; codeLenInByte = 20676
; NumSgprs: 62
; NumVgprs: 256
; ScratchSize: 384
; MemoryBound: 0
; FloatMode: 240
; IeeeMode: 1
; LDSByteSize: 0 bytes/workgroup (compile time only)
; SGPRBlocks: 7
; VGPRBlocks: 31
; NumSGPRsForWavesPerEU: 62
; NumVGPRsForWavesPerEU: 256
; Occupancy: 5
; WaveLimiterHint : 1
; COMPUTE_PGM_RSRC2:SCRATCH_EN: 1
; COMPUTE_PGM_RSRC2:USER_SGPR: 15
; COMPUTE_PGM_RSRC2:TRAP_HANDLER: 0
; COMPUTE_PGM_RSRC2:TGID_X_EN: 1
; COMPUTE_PGM_RSRC2:TGID_Y_EN: 0
; COMPUTE_PGM_RSRC2:TGID_Z_EN: 0
; COMPUTE_PGM_RSRC2:TIDIG_COMP_CNT: 0
	.text
	.p2alignl 7, 3214868480
	.fill 96, 4, 3214868480
	.type	__hip_cuid_320aa4d2e5ae9d08,@object ; @__hip_cuid_320aa4d2e5ae9d08
	.section	.bss,"aw",@nobits
	.globl	__hip_cuid_320aa4d2e5ae9d08
__hip_cuid_320aa4d2e5ae9d08:
	.byte	0                               ; 0x0
	.size	__hip_cuid_320aa4d2e5ae9d08, 1

	.ident	"AMD clang version 19.0.0git (https://github.com/RadeonOpenCompute/llvm-project roc-6.4.0 25133 c7fe45cf4b819c5991fe208aaa96edf142730f1d)"
	.section	".note.GNU-stack","",@progbits
	.addrsig
	.addrsig_sym __hip_cuid_320aa4d2e5ae9d08
	.amdgpu_metadata
---
amdhsa.kernels:
  - .args:
      - .actual_access:  read_only
        .address_space:  global
        .offset:         0
        .size:           8
        .value_kind:     global_buffer
      - .address_space:  global
        .offset:         8
        .size:           8
        .value_kind:     global_buffer
      - .offset:         16
        .size:           8
        .value_kind:     by_value
      - .actual_access:  read_only
        .address_space:  global
        .offset:         24
        .size:           8
        .value_kind:     global_buffer
      - .actual_access:  read_only
        .address_space:  global
        .offset:         32
        .size:           8
        .value_kind:     global_buffer
      - .offset:         40
        .size:           8
        .value_kind:     by_value
      - .actual_access:  read_only
        .address_space:  global
        .offset:         48
        .size:           8
        .value_kind:     global_buffer
      - .actual_access:  read_only
        .address_space:  global
        .offset:         56
        .size:           8
        .value_kind:     global_buffer
      - .offset:         64
        .size:           4
        .value_kind:     by_value
      - .actual_access:  read_only
        .address_space:  global
        .offset:         72
        .size:           8
        .value_kind:     global_buffer
      - .actual_access:  read_only
        .address_space:  global
        .offset:         80
        .size:           8
        .value_kind:     global_buffer
      - .address_space:  global
        .offset:         88
        .size:           8
        .value_kind:     global_buffer
    .group_segment_fixed_size: 0
    .kernarg_segment_align: 8
    .kernarg_segment_size: 96
    .language:       OpenCL C
    .language_version:
      - 2
      - 0
    .max_flat_workgroup_size: 119
    .name:           fft_rtc_back_len289_factors_17_17_wgs_119_tpt_17_dp_ip_CI_sbcc
    .private_segment_fixed_size: 384
    .sgpr_count:     62
    .sgpr_spill_count: 0
    .symbol:         fft_rtc_back_len289_factors_17_17_wgs_119_tpt_17_dp_ip_CI_sbcc.kd
    .uniform_work_group_size: 1
    .uses_dynamic_stack: false
    .vgpr_count:     256
    .vgpr_spill_count: 138
    .wavefront_size: 32
    .workgroup_processor_mode: 1
amdhsa.target:   amdgcn-amd-amdhsa--gfx1100
amdhsa.version:
  - 1
  - 2
...

	.end_amdgpu_metadata
